;; amdgpu-corpus repo=ROCm/aiter kind=harvested arch=n/a opt=n/a

/root/src/amdgpu-assembly/repos/ROCm__aiter/hsa/gfx942/fmoe_fp8_g1u1_smf_subGU_512.co:	file format elf64-amdgpu

Disassembly of section .text:

0000000000002b00 <fmoe_fp8_g1u1_smf_subGU_512>:
	s_and_b32 s1, s1, 0xffff                                   // 000000002B00: 8601FF01 0000FFFF
	s_load_dwordx2 s[8:9], s[0:1], 0x0                         // 000000002B08: C0060200 00000000
	s_load_dwordx2 s[20:21], s[0:1], 0x10                      // 000000002B10: C0060500 00000010
	s_load_dwordx2 s[24:25], s[0:1], 0x20                      // 000000002B18: C0060600 00000020
	s_load_dwordx2 s[50:51], s[0:1], 0x30                      // 000000002B20: C0060C80 00000030
	s_load_dwordx2 s[12:13], s[0:1], 0x40                      // 000000002B28: C0060300 00000040
	s_load_dwordx2 s[28:29], s[0:1], 0x50                      // 000000002B30: C0060700 00000050
	s_load_dwordx2 s[32:33], s[0:1], 0x60                      // 000000002B38: C0060800 00000060
	s_load_dwordx2 s[16:17], s[0:1], 0x70                      // 000000002B40: C0060400 00000070
	s_load_dwordx2 s[36:37], s[0:1], 0x80                      // 000000002B48: C0060900 00000080
	s_load_dwordx2 s[44:45], s[0:1], 0x90                      // 000000002B50: C0060B00 00000090
	s_load_dwordx2 s[40:41], s[0:1], 0xa0                      // 000000002B58: C0060A00 000000A0
	s_load_dwordx2 s[46:47], s[0:1], 0xb0                      // 000000002B60: C0060B80 000000B0
	s_load_dword s64, s[0:1], 0xc0                             // 000000002B68: C0021000 000000C0
	s_load_dword s65, s[0:1], 0xd0                             // 000000002B70: C0021040 000000D0
	s_load_dword s66, s[0:1], 0xe0                             // 000000002B78: C0021080 000000E0
	s_load_dword s67, s[0:1], 0xf0                             // 000000002B80: C00210C0 000000F0
	s_load_dword s68, s[0:1], 0x100                            // 000000002B88: C0021100 00000100
	s_load_dword s69, s[0:1], 0x110                            // 000000002B90: C0021140 00000110
	s_load_dword s70, s[0:1], 0x120                            // 000000002B98: C0021180 00000120
	s_load_dword s71, s[0:1], 0x130                            // 000000002BA0: C00211C0 00000130
	s_load_dword s72, s[0:1], 0x140                            // 000000002BA8: C0021200 00000140
	s_load_dword s73, s[0:1], 0x150                            // 000000002BB0: C0021240 00000150
	s_load_dword s74, s[0:1], 0x160                            // 000000002BB8: C0021280 00000160
	s_load_dword s75, s[0:1], 0x170                            // 000000002BC0: C00212C0 00000170
	s_load_dword s76, s[0:1], 0x180                            // 000000002BC8: C0021300 00000180
	s_load_dword s63, s[0:1], 0x190                            // 000000002BD0: C0020FC0 00000190
	v_lshrrev_b32_e32 v1, 10, v0                               // 000000002BD8: 2002008A
	v_lshrrev_b32_e32 v2, 10, v1                               // 000000002BDC: 2004028A
	v_and_b32_e32 v2, 0x3ff, v2                                // 000000002BE0: 260404FF 000003FF
	v_and_b32_e32 v1, 0x3ff, v1                                // 000000002BE8: 260202FF 000003FF
	v_and_b32_e32 v0, 0x3ff, v0                                // 000000002BF0: 260000FF 000003FF
	v_lshrrev_b32_e32 v3, 6, v0                                // 000000002BF8: 20060086
	v_and_b32_e32 v0, 63, v0                                   // 000000002BFC: 260000BF
	s_mov_b32 s60, s2                                          // 000000002C00: BEBC0002
	s_mov_b32 s2, s3                                           // 000000002C04: BE820003
	s_mov_b32 s3, s60                                          // 000000002C08: BE83003C
	v_readfirstlane_b32 s5, v3                                 // 000000002C0C: 7E0A0503
	s_waitcnt lgkmcnt(0)                                       // 000000002C10: BF8CC07F
	s_and_b32 s51, s51, 0xffff                                 // 000000002C14: 8633FF33 0000FFFF
	s_load_dword s50, s[50:51], 0x0                            // 000000002C1C: C0020C99 00000000
	s_and_b32 s45, s45, 0xffff                                 // 000000002C24: 862DFF2D 0000FFFF
	s_and_b32 s47, s47, 0xffff                                 // 000000002C2C: 862FFF2F 0000FFFF
	s_and_b32 s9, s9, 0xffff                                   // 000000002C34: 8609FF09 0000FFFF
	s_mul_i32 s60, s66, s68                                    // 000000002C3C: 923C4442
	s_mov_b32 s22, s60                                         // 000000002C40: BE96003C
	s_mov_b32 s26, 0x80000000                                  // 000000002C44: BE9A00FF 80000000
	s_mov_b32 s14, 0x80000000                                  // 000000002C4C: BE8E00FF 80000000
	s_mov_b32 s42, 0x80000000                                  // 000000002C54: BEAA00FF 80000000
	s_mov_b32 s30, 0x80000000                                  // 000000002C5C: BE9E00FF 80000000
	s_mov_b32 s34, 0x800                                       // 000000002C64: BEA200FF 00000800
	s_mov_b32 s38, 0x800                                       // 000000002C6C: BEA600FF 00000800
	s_mov_b32 s18, 0x80000000                                  // 000000002C74: BE9200FF 80000000
	s_mov_b32 s23, 0x20000                                     // 000000002C7C: BE9700FF 00020000
	s_mov_b32 s27, 0x20000                                     // 000000002C84: BE9B00FF 00020000
	s_mov_b32 s15, 0x20000                                     // 000000002C8C: BE8F00FF 00020000
	s_mov_b32 s43, 0x20000                                     // 000000002C94: BEAB00FF 00020000
	s_mov_b32 s31, 0x20000                                     // 000000002C9C: BE9F00FF 00020000
	s_mov_b32 s35, 0x20000                                     // 000000002CA4: BEA300FF 00020000
	s_mov_b32 s39, 0x20000                                     // 000000002CAC: BEA700FF 00020000
	s_mov_b32 s19, 0x20000                                     // 000000002CB4: BE9300FF 00020000
	s_and_b32 s21, s21, 0xffff                                 // 000000002CBC: 8615FF15 0000FFFF
	s_and_b32 s25, s25, 0xffff                                 // 000000002CC4: 8619FF19 0000FFFF
	s_and_b32 s13, s13, 0xffff                                 // 000000002CCC: 860DFF0D 0000FFFF
	s_and_b32 s41, s41, 0xffff                                 // 000000002CD4: 8629FF29 0000FFFF
	s_and_b32 s29, s29, 0xffff                                 // 000000002CDC: 861DFF1D 0000FFFF
	s_and_b32 s33, s33, 0xffff                                 // 000000002CE4: 8621FF21 0000FFFF
	s_and_b32 s37, s37, 0xffff                                 // 000000002CEC: 8625FF25 0000FFFF
	s_and_b32 s17, s17, 0xffff                                 // 000000002CF4: 8611FF11 0000FFFF
	s_or_b32 s21, s21, 0x40000                                 // 000000002CFC: 8715FF15 00040000
	s_or_b32 s25, s25, 0x40000                                 // 000000002D04: 8719FF19 00040000
	s_or_b32 s13, s13, 0x40000                                 // 000000002D0C: 870DFF0D 00040000
	s_or_b32 s41, s41, 0x40000                                 // 000000002D14: 8729FF29 00040000
	s_or_b32 s29, s29, 0x40000                                 // 000000002D1C: 871DFF1D 00040000
	s_or_b32 s33, s33, 0x40000                                 // 000000002D24: 8721FF21 00040000
	s_or_b32 s37, s37, 0x40000                                 // 000000002D2C: 8725FF25 00040000
	s_or_b32 s17, s17, 0x40000                                 // 000000002D34: 8711FF11 00040000
	v_accvgpr_write_b32 a255, 0                                // 000000002D3C: D3D940FF 18000080
	v_mov_b32_e32 v255, 0                                      // 000000002D44: 7FFE0280
	s_waitcnt lgkmcnt(0)                                       // 000000002D48: BF8CC07F
	s_mul_i32 s60, s3, 32                                      // 000000002D4C: 923CA003
	s_cmp_lt_i32 s60, s50                                      // 000000002D50: BF04323C
	s_cbranch_scc0 label_31F8                                  // 000000002D54: BF843162
	s_mov_b32 s80, 0                                           // 000000002D58: BED00080
	s_mov_b32 s81, s64                                         // 000000002D5C: BED10040
	s_mul_i32 s60, s3, 4                                       // 000000002D60: 923C8403
	s_add_u32 s46, s60, s46                                    // 000000002D64: 802E2E3C
	s_addc_u32 s47, 0, s47                                     // 000000002D68: 822F2F80
	s_load_dword s77, s[46:47], 0x0                            // 000000002D6C: C0021357 00000000
	s_mul_i32 s60, s3, 32                                      // 000000002D74: 923CA003
	s_add_u32 s60, s5, s60                                     // 000000002D78: 803C3C05
	s_mul_i32 s60, 4, s60                                      // 000000002D7C: 923C3C84
	s_add_u32 s44, s60, s44                                    // 000000002D80: 802C2C3C
	s_addc_u32 s45, 0, s45                                     // 000000002D84: 822D2D80
	s_load_dword s82, s[44:45], 0x0                            // 000000002D88: C0021496 00000000
	s_load_dword s83, s[44:45], 0x10                           // 000000002D90: C00214D6 00000010
	s_load_dword s84, s[44:45], 0x20                           // 000000002D98: C0021516 00000020
	s_load_dword s85, s[44:45], 0x30                           // 000000002DA0: C0021556 00000030
	s_load_dword s86, s[44:45], 0x40                           // 000000002DA8: C0021596 00000040
	s_load_dword s87, s[44:45], 0x50                           // 000000002DB0: C00215D6 00000050
	s_load_dword s88, s[44:45], 0x60                           // 000000002DB8: C0021616 00000060
	s_load_dword s89, s[44:45], 0x70                           // 000000002DC0: C0021656 00000070
	s_waitcnt lgkmcnt(0)                                       // 000000002DC8: BF8CC07F
	v_lshlrev_b32_e32 v44, 2, v0                               // 000000002DCC: 24580082
	s_and_b32 s82, s82, 0xffffff                               // 000000002DD0: 8652FF52 00FFFFFF
	s_mul_i32 s60, s82, s68                                    // 000000002DD8: 923C4452
	v_add_u32_e64 v28, v44, s60                                // 000000002DDC: D134001C 0000792C
	s_and_b32 s83, s83, 0xffffff                               // 000000002DE4: 8653FF53 00FFFFFF
	s_mul_i32 s60, s83, s68                                    // 000000002DEC: 923C4453
	v_add_u32_e64 v29, v44, s60                                // 000000002DF0: D134001D 0000792C
	s_and_b32 s84, s84, 0xffffff                               // 000000002DF8: 8654FF54 00FFFFFF
	s_mul_i32 s60, s84, s68                                    // 000000002E00: 923C4454
	v_add_u32_e64 v30, v44, s60                                // 000000002E04: D134001E 0000792C
	s_and_b32 s85, s85, 0xffffff                               // 000000002E0C: 8655FF55 00FFFFFF
	s_mul_i32 s60, s85, s68                                    // 000000002E14: 923C4455
	v_add_u32_e64 v31, v44, s60                                // 000000002E18: D134001F 0000792C
	s_and_b32 s86, s86, 0xffffff                               // 000000002E20: 8656FF56 00FFFFFF
	s_mul_i32 s60, s86, s68                                    // 000000002E28: 923C4456
	v_add_u32_e64 v32, v44, s60                                // 000000002E2C: D1340020 0000792C
	s_and_b32 s87, s87, 0xffffff                               // 000000002E34: 8657FF57 00FFFFFF
	s_mul_i32 s60, s87, s68                                    // 000000002E3C: 923C4457
	v_add_u32_e64 v33, v44, s60                                // 000000002E40: D1340021 0000792C
	s_and_b32 s88, s88, 0xffffff                               // 000000002E48: 8658FF58 00FFFFFF
	s_mul_i32 s60, s88, s68                                    // 000000002E50: 923C4458
	v_add_u32_e64 v34, v44, s60                                // 000000002E54: D1340022 0000792C
	s_and_b32 s89, s89, 0xffffff                               // 000000002E5C: 8659FF59 00FFFFFF
	s_mul_i32 s60, s89, s68                                    // 000000002E64: 923C4459
	v_add_u32_e64 v35, v44, s60                                // 000000002E68: D1340023 0000792C
	v_lshlrev_b32_e32 v44, 2, v0                               // 000000002E70: 24580082
	s_mul_i32 s60, s82, s71                                    // 000000002E74: 923C4752
	v_add_u32_e64 v80, v44, s60                                // 000000002E78: D1340050 0000792C
	v_mov_b32_e32 v81, 0                                       // 000000002E80: 7EA20280
	s_mul_i32 s60, s83, s71                                    // 000000002E84: 923C4753
	v_add_u32_e64 v82, v44, s60                                // 000000002E88: D1340052 0000792C
	v_mov_b32_e32 v83, 0                                       // 000000002E90: 7EA60280
	s_mul_i32 s60, s84, s71                                    // 000000002E94: 923C4754
	v_add_u32_e64 v84, v44, s60                                // 000000002E98: D1340054 0000792C
	v_mov_b32_e32 v85, 0                                       // 000000002EA0: 7EAA0280
	s_mul_i32 s60, s85, s71                                    // 000000002EA4: 923C4755
	v_add_u32_e64 v86, v44, s60                                // 000000002EA8: D1340056 0000792C
	v_mov_b32_e32 v87, 0                                       // 000000002EB0: 7EAE0280
	s_mul_i32 s60, s86, s71                                    // 000000002EB4: 923C4756
	v_add_u32_e64 v88, v44, s60                                // 000000002EB8: D1340058 0000792C
	v_mov_b32_e32 v89, 0                                       // 000000002EC0: 7EB20280
	s_mul_i32 s60, s87, s71                                    // 000000002EC4: 923C4757
	v_add_u32_e64 v90, v44, s60                                // 000000002EC8: D134005A 0000792C
	v_mov_b32_e32 v91, 0                                       // 000000002ED0: 7EB60280
	s_mul_i32 s60, s88, s71                                    // 000000002ED4: 923C4758
	v_add_u32_e64 v92, v44, s60                                // 000000002ED8: D134005C 0000792C
	v_mov_b32_e32 v93, 0                                       // 000000002EE0: 7EBA0280
	s_mul_i32 s60, s89, s71                                    // 000000002EE4: 923C4759
	v_add_u32_e64 v94, v44, s60                                // 000000002EE8: D134005E 0000792C
	v_mov_b32_e32 v95, 0                                       // 000000002EF0: 7EBE0280
	s_mul_i32 s60, s5, 0x208                                   // 000000002EF4: 923CFF05 00000208
	s_add_u32 s50, 0x800, s60                                  // 000000002EFC: 80323CFF 00000800
	s_add_u32 s51, 0x4100, s50                                 // 000000002F04: 803332FF 00004100
	v_lshrrev_b32_e32 v44, 4, v0                               // 000000002F0C: 20580084
	v_lshlrev_b32_e32 v45, 1, v44                              // 000000002F10: 245A5881
	v_and_b32_e32 v44, 15, v0                                  // 000000002F14: 2658008F
	v_mul_i32_i24_e32 v44, 0x82, v44                           // 000000002F18: 0C5858FF 00000082
	v_add_u32_e32 v45, v44, v45                                // 000000002F20: 685A5B2C
	v_lshlrev_b32_e32 v2, 2, v45                               // 000000002F24: 24045A82
	s_mul_i32 s60, s5, 32                                      // 000000002F28: 923CA005
	v_add_u32_e32 v2, s60, v2                                  // 000000002F2C: 6804043C
	v_lshlrev_b32_e32 v44, 3, v0                               // 000000002F30: 24580083
	s_mul_i32 s60, 0x200, s5                                   // 000000002F34: 923C05FF 00000200
	v_add_u32_e32 v3, s60, v44                                 // 000000002F3C: 6806583C
	v_and_b32_e32 v44, 15, v0                                  // 000000002F40: 2658008F
	v_lshlrev_b32_e32 v4, 3, v44                               // 000000002F44: 24085883
	v_lshrrev_b32_e32 v44, 5, v0                               // 000000002F48: 20580085
	v_lshlrev_b32_e32 v45, 5, v44                              // 000000002F4C: 245A5885
	v_and_b32_e32 v44, 31, v0                                  // 000000002F50: 2658009F
	v_lshrrev_b32_e32 v46, 4, v44                              // 000000002F54: 205C5884
	v_add_u32_e32 v45, v46, v45                                // 000000002F58: 685A5B2E
	v_and_b32_e32 v44, 15, v0                                  // 000000002F5C: 2658008F
	v_lshlrev_b32_e32 v44, 1, v44                              // 000000002F60: 24585881
	v_add_u32_e32 v45, v44, v45                                // 000000002F64: 685A5B2C
	v_lshlrev_b32_e32 v44, 2, v45                              // 000000002F68: 24585A82
	s_mul_i32 s60, 0x100, s5                                   // 000000002F6C: 923C05FF 00000100
	v_add_u32_e64 v12, v44, s60                                // 000000002F74: D134000C 0000792C
	v_lshrrev_b32_e32 v44, 4, v0                               // 000000002F7C: 20580084
	v_lshlrev_b32_e32 v45, 6, v44                              // 000000002F80: 245A5886
	v_and_b32_e32 v44, 15, v0                                  // 000000002F84: 2658008F
	v_lshlrev_b32_e32 v44, 1, v44                              // 000000002F88: 24585881
	v_add_u32_e32 v45, v44, v45                                // 000000002F8C: 685A5B2C
	v_lshlrev_b32_e32 v13, 2, v45                              // 000000002F90: 241A5A82
	s_mul_i32 s60, s2, 0x200                                   // 000000002F94: 923CFF02 00000200
	s_mul_i32 s60, s60, s69                                    // 000000002F9C: 923C453C
	s_mul_i32 s61, s77, s72                                    // 000000002FA0: 923D484D
	s_add_u32 s60, s61, s60                                    // 000000002FA4: 803C3C3D
	s_add_u32 s24, s60, s24                                    // 000000002FA8: 8018183C
	s_addc_u32 s25, 0, s25                                     // 000000002FAC: 82191980
	s_mul_i32 s60, s5, 16                                      // 000000002FB0: 923C9005
	s_mul_i32 s60, s60, s69                                    // 000000002FB4: 923C453C
	v_lshlrev_b32_e32 v36, 4, v0                               // 000000002FB8: 24480084
	v_add_u32_e32 v36, s60, v36                                // 000000002FBC: 6848483C
	s_mul_i32 s60, 64, s69                                     // 000000002FC0: 923C45C0
	v_add_u32_e32 v37, s60, v36                                // 000000002FC4: 684A483C
	v_add_u32_e32 v38, s60, v37                                // 000000002FC8: 684C4A3C
	v_add_u32_e32 v39, s60, v38                                // 000000002FCC: 684E4C3C
	v_add_u32_e32 v40, s60, v39                                // 000000002FD0: 68504E3C
	v_add_u32_e32 v41, s60, v40                                // 000000002FD4: 6852503C
	v_add_u32_e32 v42, s60, v41                                // 000000002FD8: 6854523C
	v_add_u32_e32 v43, s60, v42                                // 000000002FDC: 6856543C
	s_mov_b32 s92, s24                                         // 000000002FE0: BEDC0018
	s_mov_b32 s93, s25                                         // 000000002FE4: BEDD0019
	s_mov_b32 s94, s26                                         // 000000002FE8: BEDE001A
	s_mov_b32 s95, s27                                         // 000000002FEC: BEDF001B
	s_mul_i32 s60, s69, s65                                    // 000000002FF0: 923C4145
	s_add_u32 s92, s60, s92                                    // 000000002FF4: 805C5C3C
	s_addc_u32 s93, 0, s93                                     // 000000002FF8: 825D5D80
	s_mul_i32 s60, s2, 0x2000                                  // 000000002FFC: 923CFF02 00002000
	s_mul_i32 s61, s77, s73                                    // 000000003004: 923D494D
	s_add_u32 s60, s61, s60                                    // 000000003008: 803C3C3D
	s_add_u32 s12, s60, s12                                    // 00000000300C: 800C0C3C
	s_addc_u32 s13, 0, s13                                     // 000000003010: 820D0D80
	s_mul_i32 s60, s70, 0x100                                  // 000000003014: 923CFF46 00000100
	s_mov_b32 s78, 0x400                                       // 00000000301C: BECE00FF 00000400
	s_mul_i32 s61, s78, 7                                      // 000000003024: 923D874E
	s_sub_u32 s56, s60, s61                                    // 000000003028: 80B83D3C
	s_mul_i32 s60, s3, 32                                      // 00000000302C: 923CA003
	s_mul_i32 s60, 4, s60                                      // 000000003030: 923C3C84
	s_add_u32 s40, s60, s40                                    // 000000003034: 8028283C
	s_addc_u32 s41, 0, s41                                     // 000000003038: 82292980
	v_and_b32_e32 v44, 15, v0                                  // 00000000303C: 2658008F
	v_lshlrev_b32_e32 v8, 2, v44                               // 000000003040: 24105882
	v_add_u32_e32 v9, 64, v8                                   // 000000003044: 681210C0
	v_lshrrev_b32_e32 v44, 4, v0                               // 000000003048: 20580084
	v_lshlrev_b32_e32 v45, 2, v44                              // 00000000304C: 245A5882
	v_and_b32_e32 v44, 15, v0                                  // 000000003050: 2658008F
	v_lshrrev_b32_e32 v46, 2, v44                              // 000000003054: 205C5882
	v_lshlrev_b32_e32 v46, 6, v46                              // 000000003058: 245C5C86
	v_add_u32_e32 v45, v46, v45                                // 00000000305C: 685A5B2E
	v_and_b32_e32 v44, 3, v0                                   // 000000003060: 26580083
	v_add_u32_e32 v45, v44, v45                                // 000000003064: 685A5B2C
	v_lshlrev_b32_e32 v10, 2, v45                              // 000000003068: 24145A82
	v_add_u32_e32 v11, 0x400, v10                              // 00000000306C: 681614FF 00000400
	s_mul_i32 s60, s5, 16                                      // 000000003074: 923C9005
	s_mul_i32 s60, s60, 4                                      // 000000003078: 923C843C
	v_add_u32_e32 v10, s60, v10                                // 00000000307C: 6814143C
	v_add_u32_e32 v11, s60, v11                                // 000000003080: 6816163C
	v_mov_b32_e32 v5, v10                                      // 000000003084: 7E0A030A
	v_mov_b32_e32 v6, v10                                      // 000000003088: 7E0C030A
	s_mul_i32 s60, s2, 0x200                                   // 00000000308C: 923CFF02 00000200
	s_mul_i32 s60, s60, 4                                      // 000000003094: 923C843C
	s_mul_i32 s61, s77, s74                                    // 000000003098: 923D4A4D
	s_add_u32 s61, s61, s60                                    // 00000000309C: 803D3C3D
	s_mul_i32 s62, s77, s76                                    // 0000000030A0: 923E4C4D
	s_add_u32 s62, s62, s60                                    // 0000000030A4: 803E3C3E
	s_add_u32 s32, s61, s32                                    // 0000000030A8: 8020203D
	s_addc_u32 s33, 0, s33                                     // 0000000030AC: 82212180
	s_add_u32 s36, s62, s36                                    // 0000000030B0: 8024243E
	s_addc_u32 s37, 0, s37                                     // 0000000030B4: 82252580
	s_mul_i32 s60, s77, s75                                    // 0000000030B8: 923C4B4D
	s_add_u32 s16, s60, s16                                    // 0000000030BC: 8010103C
	s_addc_u32 s17, 0, s17                                     // 0000000030C0: 82111180
	s_add_u32 s28, s60, s28                                    // 0000000030C4: 801C1C3C
	s_addc_u32 s29, 0, s29                                     // 0000000030C8: 821D1D80
	s_mov_b32 s57, 0x200                                       // 0000000030CC: BEB900FF 00000200
	s_mov_b32 s58, 0x1000                                      // 0000000030D4: BEBA00FF 00001000
	s_mov_b32 s79, 0x400                                       // 0000000030DC: BECF00FF 00000400
	s_mov_b32 s91, 0x400                                       // 0000000030E4: BEDB00FF 00000400
	s_mov_b32 s59, 0x200                                       // 0000000030EC: BEBB00FF 00000200
	s_mov_b32 s90, s58                                         // 0000000030F4: BEDA003A
	s_mov_b32 s52, 0x7060302                                   // 0000000030F8: BEB400FF 07060302
	s_mov_b32 s53, 0x400                                       // 000000003100: BEB500FF 00000400
	s_mov_b32 s54, 0x40100                                     // 000000003108: BEB600FF 00040100
	s_mov_b32 s55, 0x4020100                                   // 000000003110: BEB700FF 04020100
	s_mov_b32 s6, 0x3fb8aa3b                                   // 000000003118: BE8600FF 3FB8AA3B
	s_mov_b32 s7, 0x3fb8aa3b                                   // 000000003120: BE8700FF 3FB8AA3B
	s_mov_b32 s3, 0xbd92220c                                   // 000000003128: BE8300FF BD92220C
	s_mov_b32 s4, 0xbd92220c                                   // 000000003130: BE8400FF BD92220C
	s_mov_b32 m0, s50                                          // 000000003138: BEFC0032
	v_mov_b32_e32 v56, 0xbfcc4231                              // 00000000313C: 7E7002FF BFCC4231
	v_mov_b32_e32 v57, 0xbfcc4231                              // 000000003144: 7E7202FF BFCC4231
	v_mov_b32_e32 v53, 0xffff0000                              // 00000000314C: 7E6A02FF FFFF0000
	v_mov_b32_e32 v54, 0x7fff0000                              // 000000003154: 7E6C02FF 7FFF0000
	v_mov_b32_e32 v55, 0x7fff                                  // 00000000315C: 7E6E02FF 00007FFF
	buffer_load_dword v20, v8, s[40:43], 0 offen               // 000000003164: E0501000 800A1408
	buffer_load_dword v21, v9, s[40:43], 0 offen               // 00000000316C: E0501000 800A1509
	buffer_load_dword v16, v10, s[32:35], 0 offen              // 000000003174: E0501000 8008100A
	buffer_load_dword v17, v11, s[32:35], 0 offen              // 00000000317C: E0501000 8008110B
	s_mul_i32 s60, 4, s65                                      // 000000003184: 923C4184
	s_add_u32 s32, s60, s32                                    // 000000003188: 8020203C
	s_addc_u32 s33, 0, s33                                     // 00000000318C: 82212180
	buffer_load_dword v8, v10, s[32:35], 0 offen               // 000000003190: E0501000 8008080A
	buffer_load_dword v9, v11, s[32:35], 0 offen               // 000000003198: E0501000 8008090B
	buffer_load_dword v18, v10, s[36:39], 0 offen              // 0000000031A0: E0501000 8009120A
	buffer_load_dword v19, v11, s[36:39], 0 offen              // 0000000031A8: E0501000 8009130B
	buffer_load_dword v14, v6, s[28:31], 0 offen               // 0000000031B0: E0501000 80070E06
	s_add_u32 s28, s91, s28                                    // 0000000031B8: 801C1C5B
	s_addc_u32 s29, 0, s29                                     // 0000000031BC: 821D1D80
	buffer_load_dword v28, s[20:23], 0 offen lds               // 0000000031C0: E0511000 8005001C
	buffer_load_dword v28, s[20:23], 0 offen offset:256 lds    // 0000000031C8: E0511100 8005001C
	s_add_u32 m0, 0x820, s50                                   // 0000000031D0: 807C32FF 00000820
	buffer_load_dword v29, s[20:23], 0 offen lds               // 0000000031D8: E0511000 8005001D
	buffer_load_dword v29, s[20:23], 0 offen offset:256 lds    // 0000000031E0: E0511100 8005001D
	s_add_u32 m0, 0x1040, s50                                  // 0000000031E8: 807C32FF 00001040
	buffer_load_dword v30, s[20:23], 0 offen lds               // 0000000031F0: E0511000 8005001E
	buffer_load_dword v30, s[20:23], 0 offen offset:256 lds    // 0000000031F8: E0511100 8005001E
	s_add_u32 m0, 0x1860, s50                                  // 000000003200: 807C32FF 00001860
	buffer_load_dword v31, s[20:23], 0 offen lds               // 000000003208: E0511000 8005001F
	buffer_load_dword v31, s[20:23], 0 offen offset:256 lds    // 000000003210: E0511100 8005001F
	s_add_u32 m0, 0x2080, s50                                  // 000000003218: 807C32FF 00002080
	buffer_load_dword v32, s[20:23], 0 offen lds               // 000000003220: E0511000 80050020
	buffer_load_dword v32, s[20:23], 0 offen offset:256 lds    // 000000003228: E0511100 80050020
	s_add_u32 m0, 0x28a0, s50                                  // 000000003230: 807C32FF 000028A0
	buffer_load_dword v33, s[20:23], 0 offen lds               // 000000003238: E0511000 80050021
	buffer_load_dword v33, s[20:23], 0 offen offset:256 lds    // 000000003240: E0511100 80050021
	s_add_u32 m0, 0x30c0, s50                                  // 000000003248: 807C32FF 000030C0
	buffer_load_dword v34, s[20:23], 0 offen lds               // 000000003250: E0511000 80050022
	buffer_load_dword v34, s[20:23], 0 offen offset:256 lds    // 000000003258: E0511100 80050022
	s_add_u32 m0, 0x38e0, s50                                  // 000000003260: 807C32FF 000038E0
	buffer_load_dword v35, s[20:23], 0 offen lds               // 000000003268: E0511000 80050023
	buffer_load_dword v35, s[20:23], 0 offen offset:256 lds    // 000000003270: E0511100 80050023
	s_add_u32 m0, 0, s51                                       // 000000003278: 807C3380
	s_add_u32 s20, s57, s20                                    // 00000000327C: 80141439
	s_addc_u32 s21, 0, s21                                     // 000000003280: 82151580
	buffer_load_dwordx4 a[0:3], v36, s[24:27], 0 offen         // 000000003284: E05C1000 80860024
	buffer_load_dwordx4 a[4:7], v36, s[24:27], 0 offen offset:1024// 00000000328C: E05C1400 80860424
	buffer_load_dwordx4 a[8:11], v36, s[24:27], 0 offen offset:2048// 000000003294: E05C1800 80860824
	buffer_load_dwordx4 a[12:15], v36, s[24:27], 0 offen offset:3072// 00000000329C: E05C1C00 80860C24
	buffer_load_dwordx4 a[16:19], v37, s[24:27], 0 offen       // 0000000032A4: E05C1000 80861025
	buffer_load_dwordx4 a[20:23], v37, s[24:27], 0 offen offset:1024// 0000000032AC: E05C1400 80861425
	buffer_load_dwordx4 a[24:27], v37, s[24:27], 0 offen offset:2048// 0000000032B4: E05C1800 80861825
	buffer_load_dwordx4 a[28:31], v37, s[24:27], 0 offen offset:3072// 0000000032BC: E05C1C00 80861C25
	buffer_load_dwordx4 a[32:35], v38, s[24:27], 0 offen       // 0000000032C4: E05C1000 80862026
	buffer_load_dwordx4 a[36:39], v38, s[24:27], 0 offen offset:1024// 0000000032CC: E05C1400 80862426
	buffer_load_dwordx4 a[40:43], v38, s[24:27], 0 offen offset:2048// 0000000032D4: E05C1800 80862826
	buffer_load_dwordx4 a[44:47], v38, s[24:27], 0 offen offset:3072// 0000000032DC: E05C1C00 80862C26
	buffer_load_dwordx4 a[48:51], v39, s[24:27], 0 offen       // 0000000032E4: E05C1000 80863027
	buffer_load_dwordx4 a[52:55], v39, s[24:27], 0 offen offset:1024// 0000000032EC: E05C1400 80863427
	buffer_load_dwordx4 a[56:59], v39, s[24:27], 0 offen offset:2048// 0000000032F4: E05C1800 80863827
	buffer_load_dwordx4 a[60:63], v39, s[24:27], 0 offen offset:3072// 0000000032FC: E05C1C00 80863C27
	buffer_load_dwordx4 a[64:67], v40, s[24:27], 0 offen       // 000000003304: E05C1000 80864028
	buffer_load_dwordx4 a[68:71], v40, s[24:27], 0 offen offset:1024// 00000000330C: E05C1400 80864428
	buffer_load_dwordx4 a[72:75], v40, s[24:27], 0 offen offset:2048// 000000003314: E05C1800 80864828
	buffer_load_dwordx4 a[76:79], v40, s[24:27], 0 offen offset:3072// 00000000331C: E05C1C00 80864C28
	buffer_load_dwordx4 a[80:83], v41, s[24:27], 0 offen       // 000000003324: E05C1000 80865029
	buffer_load_dwordx4 a[84:87], v41, s[24:27], 0 offen offset:1024// 00000000332C: E05C1400 80865429
	buffer_load_dwordx4 a[88:91], v41, s[24:27], 0 offen offset:2048// 000000003334: E05C1800 80865829
	buffer_load_dwordx4 a[92:95], v41, s[24:27], 0 offen offset:3072// 00000000333C: E05C1C00 80865C29
	buffer_load_dwordx4 a[96:99], v42, s[24:27], 0 offen       // 000000003344: E05C1000 8086602A
	buffer_load_dwordx4 a[100:103], v42, s[24:27], 0 offen offset:1024// 00000000334C: E05C1400 8086642A
	buffer_load_dwordx4 a[104:107], v42, s[24:27], 0 offen offset:2048// 000000003354: E05C1800 8086682A
	buffer_load_dwordx4 a[108:111], v42, s[24:27], 0 offen offset:3072// 00000000335C: E05C1C00 80866C2A
	buffer_load_dwordx4 a[112:115], v43, s[24:27], 0 offen     // 000000003364: E05C1000 8086702B
	buffer_load_dwordx4 a[116:119], v43, s[24:27], 0 offen offset:1024// 00000000336C: E05C1400 8086742B
	buffer_load_dwordx4 a[120:123], v43, s[24:27], 0 offen offset:2048// 000000003374: E05C1800 8086782B
	buffer_load_dwordx4 a[124:127], v43, s[24:27], 0 offen offset:3072// 00000000337C: E05C1C00 80867C2B
	s_add_u32 s24, s58, s24                                    // 000000003384: 8018183A
	s_addc_u32 s25, 0, s25                                     // 000000003388: 82191980
	v_mov_b32_e32 v128, 0                                      // 00000000338C: 7F000280
	v_mov_b32_e32 v64, 0                                       // 000000003390: 7E800280
	v_mov_b32_e32 v129, 0                                      // 000000003394: 7F020280
	v_mov_b32_e32 v65, 0                                       // 000000003398: 7E820280
	v_mov_b32_e32 v130, 0                                      // 00000000339C: 7F040280
	v_mov_b32_e32 v66, 0                                       // 0000000033A0: 7E840280
	v_mov_b32_e32 v131, 0                                      // 0000000033A4: 7F060280
	v_mov_b32_e32 v67, 0                                       // 0000000033A8: 7E860280
	v_mov_b32_e32 v132, 0                                      // 0000000033AC: 7F080280
	v_mov_b32_e32 v68, 0                                       // 0000000033B0: 7E880280
	v_mov_b32_e32 v133, 0                                      // 0000000033B4: 7F0A0280
	v_mov_b32_e32 v69, 0                                       // 0000000033B8: 7E8A0280
	v_mov_b32_e32 v134, 0                                      // 0000000033BC: 7F0C0280
	v_mov_b32_e32 v70, 0                                       // 0000000033C0: 7E8C0280
	v_mov_b32_e32 v135, 0                                      // 0000000033C4: 7F0E0280
	v_mov_b32_e32 v71, 0                                       // 0000000033C8: 7E8E0280
	v_mov_b32_e32 v136, 0                                      // 0000000033CC: 7F100280
	v_mov_b32_e32 v72, 0                                       // 0000000033D0: 7E900280
	v_mov_b32_e32 v137, 0                                      // 0000000033D4: 7F120280
	v_mov_b32_e32 v73, 0                                       // 0000000033D8: 7E920280
	v_mov_b32_e32 v138, 0                                      // 0000000033DC: 7F140280
	v_mov_b32_e32 v74, 0                                       // 0000000033E0: 7E940280
	v_mov_b32_e32 v139, 0                                      // 0000000033E4: 7F160280
	v_mov_b32_e32 v75, 0                                       // 0000000033E8: 7E960280
	v_mov_b32_e32 v140, 0                                      // 0000000033EC: 7F180280
	v_mov_b32_e32 v76, 0                                       // 0000000033F0: 7E980280
	v_mov_b32_e32 v141, 0                                      // 0000000033F4: 7F1A0280
	v_mov_b32_e32 v77, 0                                       // 0000000033F8: 7E9A0280
	v_mov_b32_e32 v142, 0                                      // 0000000033FC: 7F1C0280
	v_mov_b32_e32 v78, 0                                       // 000000003400: 7E9C0280
	v_mov_b32_e32 v143, 0                                      // 000000003404: 7F1E0280
	v_mov_b32_e32 v79, 0                                       // 000000003408: 7E9E0280
	v_mov_b32_e32 v144, 0                                      // 00000000340C: 7F200280
	v_mov_b32_e32 v80, 0                                       // 000000003410: 7EA00280
	v_mov_b32_e32 v145, 0                                      // 000000003414: 7F220280
	v_mov_b32_e32 v81, 0                                       // 000000003418: 7EA20280
	v_mov_b32_e32 v146, 0                                      // 00000000341C: 7F240280
	v_mov_b32_e32 v82, 0                                       // 000000003420: 7EA40280
	v_mov_b32_e32 v147, 0                                      // 000000003424: 7F260280
	v_mov_b32_e32 v83, 0                                       // 000000003428: 7EA60280
	v_mov_b32_e32 v148, 0                                      // 00000000342C: 7F280280
	v_mov_b32_e32 v84, 0                                       // 000000003430: 7EA80280
	v_mov_b32_e32 v149, 0                                      // 000000003434: 7F2A0280
	v_mov_b32_e32 v85, 0                                       // 000000003438: 7EAA0280
	v_mov_b32_e32 v150, 0                                      // 00000000343C: 7F2C0280
	v_mov_b32_e32 v86, 0                                       // 000000003440: 7EAC0280
	v_mov_b32_e32 v151, 0                                      // 000000003444: 7F2E0280
	v_mov_b32_e32 v87, 0                                       // 000000003448: 7EAE0280
	v_mov_b32_e32 v152, 0                                      // 00000000344C: 7F300280
	v_mov_b32_e32 v88, 0                                       // 000000003450: 7EB00280
	v_mov_b32_e32 v153, 0                                      // 000000003454: 7F320280
	v_mov_b32_e32 v89, 0                                       // 000000003458: 7EB20280
	v_mov_b32_e32 v154, 0                                      // 00000000345C: 7F340280
	v_mov_b32_e32 v90, 0                                       // 000000003460: 7EB40280
	v_mov_b32_e32 v155, 0                                      // 000000003464: 7F360280
	v_mov_b32_e32 v91, 0                                       // 000000003468: 7EB60280
	v_mov_b32_e32 v156, 0                                      // 00000000346C: 7F380280
	v_mov_b32_e32 v92, 0                                       // 000000003470: 7EB80280
	v_mov_b32_e32 v157, 0                                      // 000000003474: 7F3A0280
	v_mov_b32_e32 v93, 0                                       // 000000003478: 7EBA0280
	v_mov_b32_e32 v158, 0                                      // 00000000347C: 7F3C0280
	v_mov_b32_e32 v94, 0                                       // 000000003480: 7EBC0280
	v_mov_b32_e32 v159, 0                                      // 000000003484: 7F3E0280
	v_mov_b32_e32 v95, 0                                       // 000000003488: 7EBE0280
	v_mov_b32_e32 v160, 0                                      // 00000000348C: 7F400280
	v_mov_b32_e32 v96, 0                                       // 000000003490: 7EC00280
	v_mov_b32_e32 v161, 0                                      // 000000003494: 7F420280
	v_mov_b32_e32 v97, 0                                       // 000000003498: 7EC20280
	v_mov_b32_e32 v162, 0                                      // 00000000349C: 7F440280
	v_mov_b32_e32 v98, 0                                       // 0000000034A0: 7EC40280
	v_mov_b32_e32 v163, 0                                      // 0000000034A4: 7F460280
	v_mov_b32_e32 v99, 0                                       // 0000000034A8: 7EC60280
	v_mov_b32_e32 v164, 0                                      // 0000000034AC: 7F480280
	v_mov_b32_e32 v100, 0                                      // 0000000034B0: 7EC80280
	v_mov_b32_e32 v165, 0                                      // 0000000034B4: 7F4A0280
	v_mov_b32_e32 v101, 0                                      // 0000000034B8: 7ECA0280
	v_mov_b32_e32 v166, 0                                      // 0000000034BC: 7F4C0280
	v_mov_b32_e32 v102, 0                                      // 0000000034C0: 7ECC0280
	v_mov_b32_e32 v167, 0                                      // 0000000034C4: 7F4E0280
	v_mov_b32_e32 v103, 0                                      // 0000000034C8: 7ECE0280
	v_mov_b32_e32 v168, 0                                      // 0000000034CC: 7F500280
	v_mov_b32_e32 v104, 0                                      // 0000000034D0: 7ED00280
	v_mov_b32_e32 v169, 0                                      // 0000000034D4: 7F520280
	v_mov_b32_e32 v105, 0                                      // 0000000034D8: 7ED20280
	v_mov_b32_e32 v170, 0                                      // 0000000034DC: 7F540280
	v_mov_b32_e32 v106, 0                                      // 0000000034E0: 7ED40280
	v_mov_b32_e32 v171, 0                                      // 0000000034E4: 7F560280
	v_mov_b32_e32 v107, 0                                      // 0000000034E8: 7ED60280
	v_mov_b32_e32 v172, 0                                      // 0000000034EC: 7F580280
	v_mov_b32_e32 v108, 0                                      // 0000000034F0: 7ED80280
	v_mov_b32_e32 v173, 0                                      // 0000000034F4: 7F5A0280
	v_mov_b32_e32 v109, 0                                      // 0000000034F8: 7EDA0280
	v_mov_b32_e32 v174, 0                                      // 0000000034FC: 7F5C0280
	v_mov_b32_e32 v110, 0                                      // 000000003500: 7EDC0280
	v_mov_b32_e32 v175, 0                                      // 000000003504: 7F5E0280
	v_mov_b32_e32 v111, 0                                      // 000000003508: 7EDE0280
	v_mov_b32_e32 v176, 0                                      // 00000000350C: 7F600280
	v_mov_b32_e32 v112, 0                                      // 000000003510: 7EE00280
	v_mov_b32_e32 v177, 0                                      // 000000003514: 7F620280
	v_mov_b32_e32 v113, 0                                      // 000000003518: 7EE20280
	v_mov_b32_e32 v178, 0                                      // 00000000351C: 7F640280
	v_mov_b32_e32 v114, 0                                      // 000000003520: 7EE40280
	v_mov_b32_e32 v179, 0                                      // 000000003524: 7F660280
	v_mov_b32_e32 v115, 0                                      // 000000003528: 7EE60280
	v_mov_b32_e32 v180, 0                                      // 00000000352C: 7F680280
	v_mov_b32_e32 v116, 0                                      // 000000003530: 7EE80280
	v_mov_b32_e32 v181, 0                                      // 000000003534: 7F6A0280
	v_mov_b32_e32 v117, 0                                      // 000000003538: 7EEA0280
	v_mov_b32_e32 v182, 0                                      // 00000000353C: 7F6C0280
	v_mov_b32_e32 v118, 0                                      // 000000003540: 7EEC0280
	v_mov_b32_e32 v183, 0                                      // 000000003544: 7F6E0280
	v_mov_b32_e32 v119, 0                                      // 000000003548: 7EEE0280
	v_mov_b32_e32 v184, 0                                      // 00000000354C: 7F700280
	v_mov_b32_e32 v120, 0                                      // 000000003550: 7EF00280
	v_mov_b32_e32 v185, 0                                      // 000000003554: 7F720280
	v_mov_b32_e32 v121, 0                                      // 000000003558: 7EF20280
	v_mov_b32_e32 v186, 0                                      // 00000000355C: 7F740280
	v_mov_b32_e32 v122, 0                                      // 000000003560: 7EF40280
	v_mov_b32_e32 v187, 0                                      // 000000003564: 7F760280
	v_mov_b32_e32 v123, 0                                      // 000000003568: 7EF60280
	v_mov_b32_e32 v188, 0                                      // 00000000356C: 7F780280
	v_mov_b32_e32 v124, 0                                      // 000000003570: 7EF80280
	v_mov_b32_e32 v189, 0                                      // 000000003574: 7F7A0280
	v_mov_b32_e32 v125, 0                                      // 000000003578: 7EFA0280
	v_mov_b32_e32 v190, 0                                      // 00000000357C: 7F7C0280
	v_mov_b32_e32 v126, 0                                      // 000000003580: 7EFC0280
	v_mov_b32_e32 v191, 0                                      // 000000003584: 7F7E0280
	v_mov_b32_e32 v127, 0                                      // 000000003588: 7EFE0280
	s_waitcnt vmcnt(32)                                        // 00000000358C: BF8C8F70
	s_barrier                                                  // 000000003590: BF8A0000
	ds_read_b64 v[192:193], v2 offset:2048                     // 000000003594: D8EC0800 C0000002
	ds_read_b64 v[196:197], v2 offset:10368                    // 00000000359C: D8EC2880 C4000002
	ds_read_b64 v[200:201], v2 offset:2176                     // 0000000035A4: D8EC0880 C8000002
	ds_read_b64 v[204:205], v2 offset:10496                    // 0000000035AC: D8EC2900 CC000002
	ds_read_b64 v[208:209], v2 offset:2304                     // 0000000035B4: D8EC0900 D0000002
	ds_read_b64 v[212:213], v2 offset:10624                    // 0000000035BC: D8EC2980 D4000002
	ds_read_b64 v[216:217], v2 offset:2432                     // 0000000035C4: D8EC0980 D8000002
	ds_read_b64 v[220:221], v2 offset:10752                    // 0000000035CC: D8EC2A00 DC000002
	s_waitcnt lgkmcnt(0)                                       // 0000000035D4: BF8CC07F
	v_and_b32_e32 v195, 0xffff0000, v193                       // 0000000035D8: 278782FF FFFF0000
	v_lshlrev_b32_e32 v194, 16, v193                           // 0000000035E0: 25858290
	v_and_b32_e32 v193, 0xffff0000, v192                       // 0000000035E4: 278380FF FFFF0000
	v_lshlrev_b32_e32 v192, 16, v192                           // 0000000035EC: 25818090
	v_and_b32_e32 v199, 0xffff0000, v197                       // 0000000035F0: 278F8AFF FFFF0000
	v_lshlrev_b32_e32 v198, 16, v197                           // 0000000035F8: 258D8A90
	v_and_b32_e32 v197, 0xffff0000, v196                       // 0000000035FC: 278B88FF FFFF0000
	v_lshlrev_b32_e32 v196, 16, v196                           // 000000003604: 25898890
	v_and_b32_e32 v203, 0xffff0000, v201                       // 000000003608: 279792FF FFFF0000
	v_lshlrev_b32_e32 v202, 16, v201                           // 000000003610: 25959290
	v_and_b32_e32 v201, 0xffff0000, v200                       // 000000003614: 279390FF FFFF0000
	v_lshlrev_b32_e32 v200, 16, v200                           // 00000000361C: 25919090
	v_and_b32_e32 v207, 0xffff0000, v205                       // 000000003620: 279F9AFF FFFF0000
	v_lshlrev_b32_e32 v206, 16, v205                           // 000000003628: 259D9A90
	v_and_b32_e32 v205, 0xffff0000, v204                       // 00000000362C: 279B98FF FFFF0000
	v_lshlrev_b32_e32 v204, 16, v204                           // 000000003634: 25999890
	v_and_b32_e32 v211, 0xffff0000, v209                       // 000000003638: 27A7A2FF FFFF0000
	v_lshlrev_b32_e32 v210, 16, v209                           // 000000003640: 25A5A290
	v_and_b32_e32 v209, 0xffff0000, v208                       // 000000003644: 27A3A0FF FFFF0000
	v_lshlrev_b32_e32 v208, 16, v208                           // 00000000364C: 25A1A090
	v_and_b32_e32 v215, 0xffff0000, v213                       // 000000003650: 27AFAAFF FFFF0000
	v_lshlrev_b32_e32 v214, 16, v213                           // 000000003658: 25ADAA90
	v_and_b32_e32 v213, 0xffff0000, v212                       // 00000000365C: 27ABA8FF FFFF0000
	v_lshlrev_b32_e32 v212, 16, v212                           // 000000003664: 25A9A890
	v_and_b32_e32 v219, 0xffff0000, v217                       // 000000003668: 27B7B2FF FFFF0000
	v_lshlrev_b32_e32 v218, 16, v217                           // 000000003670: 25B5B290
	v_and_b32_e32 v217, 0xffff0000, v216                       // 000000003674: 27B3B0FF FFFF0000
	v_lshlrev_b32_e32 v216, 16, v216                           // 00000000367C: 25B1B090
	v_and_b32_e32 v223, 0xffff0000, v221                       // 000000003680: 27BFBAFF FFFF0000
	v_lshlrev_b32_e32 v222, 16, v221                           // 000000003688: 25BDBA90
	v_and_b32_e32 v221, 0xffff0000, v220                       // 00000000368C: 27BBB8FF FFFF0000
	v_lshlrev_b32_e32 v220, 16, v220                           // 000000003694: 25B9B890
	v_mul_f32_dpp v192, v14, v192 row_newbcast:0 row_mask:0xf bank_mask:0xf// 000000003698: 0B8180FA FF01500E
	v_mul_f32_dpp v193, v14, v193 row_newbcast:1 row_mask:0xf bank_mask:0xf// 0000000036A0: 0B8382FA FF01510E
	v_mul_f32_dpp v194, v14, v194 row_newbcast:2 row_mask:0xf bank_mask:0xf// 0000000036A8: 0B8584FA FF01520E
	v_mul_f32_dpp v195, v14, v195 row_newbcast:3 row_mask:0xf bank_mask:0xf// 0000000036B0: 0B8786FA FF01530E
	v_mul_f32_dpp v196, v14, v196 row_newbcast:0 row_mask:0xf bank_mask:0xf// 0000000036B8: 0B8988FA FF01500E
	v_mul_f32_dpp v197, v14, v197 row_newbcast:1 row_mask:0xf bank_mask:0xf// 0000000036C0: 0B8B8AFA FF01510E
	v_mul_f32_dpp v198, v14, v198 row_newbcast:2 row_mask:0xf bank_mask:0xf// 0000000036C8: 0B8D8CFA FF01520E
	v_mul_f32_dpp v199, v14, v199 row_newbcast:3 row_mask:0xf bank_mask:0xf// 0000000036D0: 0B8F8EFA FF01530E
	v_mul_f32_dpp v200, v14, v200 row_newbcast:4 row_mask:0xf bank_mask:0xf// 0000000036D8: 0B9190FA FF01540E
	v_mul_f32_dpp v201, v14, v201 row_newbcast:5 row_mask:0xf bank_mask:0xf// 0000000036E0: 0B9392FA FF01550E
	v_mul_f32_dpp v202, v14, v202 row_newbcast:6 row_mask:0xf bank_mask:0xf// 0000000036E8: 0B9594FA FF01560E
	v_mul_f32_dpp v203, v14, v203 row_newbcast:7 row_mask:0xf bank_mask:0xf// 0000000036F0: 0B9796FA FF01570E
	v_mul_f32_dpp v204, v14, v204 row_newbcast:4 row_mask:0xf bank_mask:0xf// 0000000036F8: 0B9998FA FF01540E
	v_mul_f32_dpp v205, v14, v205 row_newbcast:5 row_mask:0xf bank_mask:0xf// 000000003700: 0B9B9AFA FF01550E
	v_mul_f32_dpp v206, v14, v206 row_newbcast:6 row_mask:0xf bank_mask:0xf// 000000003708: 0B9D9CFA FF01560E
	v_mul_f32_dpp v207, v14, v207 row_newbcast:7 row_mask:0xf bank_mask:0xf// 000000003710: 0B9F9EFA FF01570E
	v_mul_f32_dpp v208, v14, v208 row_newbcast:8 row_mask:0xf bank_mask:0xf// 000000003718: 0BA1A0FA FF01580E
	v_mul_f32_dpp v209, v14, v209 row_newbcast:9 row_mask:0xf bank_mask:0xf// 000000003720: 0BA3A2FA FF01590E
	v_mul_f32_dpp v210, v14, v210 row_newbcast:10 row_mask:0xf bank_mask:0xf// 000000003728: 0BA5A4FA FF015A0E
	v_mul_f32_dpp v211, v14, v211 row_newbcast:11 row_mask:0xf bank_mask:0xf// 000000003730: 0BA7A6FA FF015B0E
	v_mul_f32_dpp v212, v14, v212 row_newbcast:8 row_mask:0xf bank_mask:0xf// 000000003738: 0BA9A8FA FF01580E
	v_mul_f32_dpp v213, v14, v213 row_newbcast:9 row_mask:0xf bank_mask:0xf// 000000003740: 0BABAAFA FF01590E
	v_mul_f32_dpp v214, v14, v214 row_newbcast:10 row_mask:0xf bank_mask:0xf// 000000003748: 0BADACFA FF015A0E
	v_mul_f32_dpp v215, v14, v215 row_newbcast:11 row_mask:0xf bank_mask:0xf// 000000003750: 0BAFAEFA FF015B0E
	v_mul_f32_dpp v216, v14, v216 row_newbcast:12 row_mask:0xf bank_mask:0xf// 000000003758: 0BB1B0FA FF015C0E
	v_mul_f32_dpp v217, v14, v217 row_newbcast:13 row_mask:0xf bank_mask:0xf// 000000003760: 0BB3B2FA FF015D0E
	v_mul_f32_dpp v218, v14, v218 row_newbcast:14 row_mask:0xf bank_mask:0xf// 000000003768: 0BB5B4FA FF015E0E
	v_mul_f32_dpp v219, v14, v219 row_newbcast:15 row_mask:0xf bank_mask:0xf// 000000003770: 0BB7B6FA FF015F0E
	v_mul_f32_dpp v220, v14, v220 row_newbcast:12 row_mask:0xf bank_mask:0xf// 000000003778: 0BB9B8FA FF015C0E
	v_mul_f32_dpp v221, v14, v221 row_newbcast:13 row_mask:0xf bank_mask:0xf// 000000003780: 0BBBBAFA FF015D0E
	v_mul_f32_dpp v222, v14, v222 row_newbcast:14 row_mask:0xf bank_mask:0xf// 000000003788: 0BBDBCFA FF015E0E
	v_mul_f32_dpp v223, v14, v223 row_newbcast:15 row_mask:0xf bank_mask:0xf// 000000003790: 0BBFBEFA FF015F0E
	v_mov_b32_e32 v48, 0x358637bd                              // 000000003798: 7E6002FF 358637BD
	v_mov_b32_e32 v49, 0x358637bd                              // 0000000037A0: 7E6202FF 358637BD
	v_max3_f32 v48, |v192|, |v193|, v48                        // 0000000037A8: D1D30330 04C383C0
	v_max3_f32 v48, |v194|, |v195|, v48                        // 0000000037B0: D1D30330 04C387C2
	v_max3_f32 v49, |v196|, |v197|, v49                        // 0000000037B8: D1D30331 04C78BC4
	v_max3_f32 v49, |v198|, |v199|, v49                        // 0000000037C0: D1D30331 04C78FC6
	v_max3_f32 v48, |v200|, |v201|, v48                        // 0000000037C8: D1D30330 04C393C8
	v_max3_f32 v48, |v202|, |v203|, v48                        // 0000000037D0: D1D30330 04C397CA
	v_max3_f32 v49, |v204|, |v205|, v49                        // 0000000037D8: D1D30331 04C79BCC
	v_max3_f32 v49, |v206|, |v207|, v49                        // 0000000037E0: D1D30331 04C79FCE
	v_max3_f32 v48, |v208|, |v209|, v48                        // 0000000037E8: D1D30330 04C3A3D0
	v_max3_f32 v48, |v210|, |v211|, v48                        // 0000000037F0: D1D30330 04C3A7D2
	v_max3_f32 v49, |v212|, |v213|, v49                        // 0000000037F8: D1D30331 04C7ABD4
	v_max3_f32 v49, |v214|, |v215|, v49                        // 000000003800: D1D30331 04C7AFD6
	v_max3_f32 v48, |v216|, |v217|, v48                        // 000000003808: D1D30330 04C3B3D8
	v_max3_f32 v48, |v218|, |v219|, v48                        // 000000003810: D1D30330 04C3B7DA
	v_max3_f32 v49, |v220|, |v221|, v49                        // 000000003818: D1D30331 04C7BBDC
	v_max3_f32 v49, |v222|, |v223|, v49                        // 000000003820: D1D30331 04C7BFDE
	ds_write_b64 v3, v[48:49]                                  // 000000003828: D89A0000 00003003
	s_waitcnt lgkmcnt(0)                                       // 000000003830: BF8CC07F
	s_barrier                                                  // 000000003834: BF8A0000
	ds_read_b64 v[48:49], v4                                   // 000000003838: D8EC0000 30000004
	ds_read_b64 v[50:51], v4 offset:128                        // 000000003840: D8EC0080 32000004
	ds_read_b64 v[52:53], v4 offset:256                        // 000000003848: D8EC0100 34000004
	ds_read_b64 v[54:55], v4 offset:384                        // 000000003850: D8EC0180 36000004
	ds_read_b64 v[56:57], v4 offset:512                        // 000000003858: D8EC0200 38000004
	ds_read_b64 v[58:59], v4 offset:640                        // 000000003860: D8EC0280 3A000004
	ds_read_b64 v[60:61], v4 offset:768                        // 000000003868: D8EC0300 3C000004
	ds_read_b64 v[62:63], v4 offset:896                        // 000000003870: D8EC0380 3E000004
	s_waitcnt lgkmcnt(0)                                       // 000000003878: BF8CC07F
	v_mov_b32_e32 v22, 0x358637bd                              // 00000000387C: 7E2C02FF 358637BD
	v_mov_b32_e32 v23, 0x358637bd                              // 000000003884: 7E2E02FF 358637BD
	v_max3_f32 v22, |v48|, |v50|, v22                          // 00000000388C: D1D30316 045A6530
	v_max3_f32 v23, |v49|, |v51|, v23                          // 000000003894: D1D30317 045E6731
	v_max3_f32 v22, |v52|, |v54|, v22                          // 00000000389C: D1D30316 045A6D34
	v_max3_f32 v23, |v53|, |v55|, v23                          // 0000000038A4: D1D30317 045E6F35
	v_max3_f32 v22, |v56|, |v58|, v22                          // 0000000038AC: D1D30316 045A7538
	v_max3_f32 v23, |v57|, |v59|, v23                          // 0000000038B4: D1D30317 045E7739
	v_max3_f32 v22, |v60|, |v62|, v22                          // 0000000038BC: D1D30316 045A7D3C
	v_max3_f32 v23, |v61|, |v63|, v23                          // 0000000038C4: D1D30317 045E7F3D
	ds_read_b64 v[48:49], v4 offset:1024                       // 0000000038CC: D8EC0400 30000004
	ds_read_b64 v[50:51], v4 offset:1152                       // 0000000038D4: D8EC0480 32000004
	ds_read_b64 v[52:53], v4 offset:1280                       // 0000000038DC: D8EC0500 34000004
	ds_read_b64 v[54:55], v4 offset:1408                       // 0000000038E4: D8EC0580 36000004
	ds_read_b64 v[56:57], v4 offset:1536                       // 0000000038EC: D8EC0600 38000004
	ds_read_b64 v[58:59], v4 offset:1664                       // 0000000038F4: D8EC0680 3A000004
	ds_read_b64 v[60:61], v4 offset:1792                       // 0000000038FC: D8EC0700 3C000004
	ds_read_b64 v[62:63], v4 offset:1920                       // 000000003904: D8EC0780 3E000004
	s_waitcnt lgkmcnt(0)                                       // 00000000390C: BF8CC07F
	v_max3_f32 v22, |v48|, |v50|, v22                          // 000000003910: D1D30316 045A6530
	v_max3_f32 v23, |v49|, |v51|, v23                          // 000000003918: D1D30317 045E6731
	v_max3_f32 v22, |v52|, |v54|, v22                          // 000000003920: D1D30316 045A6D34
	v_max3_f32 v23, |v53|, |v55|, v23                          // 000000003928: D1D30317 045E6F35
	v_max3_f32 v22, |v56|, |v58|, v22                          // 000000003930: D1D30316 045A7538
	v_max3_f32 v23, |v57|, |v59|, v23                          // 000000003938: D1D30317 045E7739
	v_max3_f32 v22, |v60|, |v62|, v22                          // 000000003940: D1D30316 045A7D3C
	v_max3_f32 v23, |v61|, |v63|, v23                          // 000000003948: D1D30317 045E7F3D
	v_mov_b32_e32 v44, 0x43700000                              // 000000003950: 7E5802FF 43700000
	v_rcp_f32_e32 v22, v22                                     // 000000003958: 7E2C4516
	v_rcp_f32_e32 v23, v23                                     // 00000000395C: 7E2E4517
	s_nop 1                                                    // 000000003960: BF800001
	v_mul_f32_e32 v22, v44, v22                                // 000000003964: 0A2C2D2C
	v_mul_f32_e32 v23, v44, v23                                // 000000003968: 0A2E2F2C
	v_rcp_f32_e32 v24, v22                                     // 00000000396C: 7E304516
	v_rcp_f32_e32 v25, v23                                     // 000000003970: 7E324517
	v_mov_b32_e32 v44, v22                                     // 000000003974: 7E580316
	v_mov_b32_e32 v45, v22                                     // 000000003978: 7E5A0316
	v_mov_b32_e32 v46, v23                                     // 00000000397C: 7E5C0317
	v_mov_b32_e32 v47, v23                                     // 000000003980: 7E5E0317
	v_pk_mul_f32 v[192:193], v[44:45], v[192:193]              // 000000003984: D3B140C0 1803812C
	v_pk_mul_f32 v[194:195], v[44:45], v[194:195]              // 00000000398C: D3B140C2 1803852C
	v_cvt_pk_fp8_f32 v192, v192, v193                          // 000000003994: D2A200C0 000383C0
	v_cvt_pk_fp8_f32 v192, v194, v195 op_sel:[0,0,1]           // 00000000399C: D2A240C0 000387C2
	v_pk_mul_f32 v[196:197], v[46:47], v[196:197]              // 0000000039A4: D3B140C4 1803892E
	v_pk_mul_f32 v[198:199], v[46:47], v[198:199]              // 0000000039AC: D3B140C6 18038D2E
	v_cvt_pk_fp8_f32 v193, v196, v197                          // 0000000039B4: D2A200C1 00038BC4
	v_cvt_pk_fp8_f32 v193, v198, v199 op_sel:[0,0,1]           // 0000000039BC: D2A240C1 00038FC6
	v_pk_mul_f32 v[200:201], v[44:45], v[200:201]              // 0000000039C4: D3B140C8 1803912C
	v_pk_mul_f32 v[202:203], v[44:45], v[202:203]              // 0000000039CC: D3B140CA 1803952C
	v_cvt_pk_fp8_f32 v194, v200, v201                          // 0000000039D4: D2A200C2 000393C8
	v_cvt_pk_fp8_f32 v194, v202, v203 op_sel:[0,0,1]           // 0000000039DC: D2A240C2 000397CA
	v_pk_mul_f32 v[204:205], v[46:47], v[204:205]              // 0000000039E4: D3B140CC 1803992E
	v_pk_mul_f32 v[206:207], v[46:47], v[206:207]              // 0000000039EC: D3B140CE 18039D2E
	v_cvt_pk_fp8_f32 v195, v204, v205                          // 0000000039F4: D2A200C3 00039BCC
	v_cvt_pk_fp8_f32 v195, v206, v207 op_sel:[0,0,1]           // 0000000039FC: D2A240C3 00039FCE
	v_pk_mul_f32 v[208:209], v[44:45], v[208:209]              // 000000003A04: D3B140D0 1803A12C
	v_pk_mul_f32 v[210:211], v[44:45], v[210:211]              // 000000003A0C: D3B140D2 1803A52C
	v_cvt_pk_fp8_f32 v196, v208, v209                          // 000000003A14: D2A200C4 0003A3D0
	v_cvt_pk_fp8_f32 v196, v210, v211 op_sel:[0,0,1]           // 000000003A1C: D2A240C4 0003A7D2
	v_pk_mul_f32 v[212:213], v[46:47], v[212:213]              // 000000003A24: D3B140D4 1803A92E
	v_pk_mul_f32 v[214:215], v[46:47], v[214:215]              // 000000003A2C: D3B140D6 1803AD2E
	v_cvt_pk_fp8_f32 v197, v212, v213                          // 000000003A34: D2A200C5 0003ABD4
	v_cvt_pk_fp8_f32 v197, v214, v215 op_sel:[0,0,1]           // 000000003A3C: D2A240C5 0003AFD6
	v_pk_mul_f32 v[216:217], v[44:45], v[216:217]              // 000000003A44: D3B140D8 1803B12C
	v_pk_mul_f32 v[218:219], v[44:45], v[218:219]              // 000000003A4C: D3B140DA 1803B52C
	v_cvt_pk_fp8_f32 v198, v216, v217                          // 000000003A54: D2A200C6 0003B3D8
	v_cvt_pk_fp8_f32 v198, v218, v219 op_sel:[0,0,1]           // 000000003A5C: D2A240C6 0003B7DA
	v_pk_mul_f32 v[220:221], v[46:47], v[220:221]              // 000000003A64: D3B140DC 1803B92E
	v_pk_mul_f32 v[222:223], v[46:47], v[222:223]              // 000000003A6C: D3B140DE 1803BD2E
	v_cvt_pk_fp8_f32 v199, v220, v221                          // 000000003A74: D2A200C7 0003BBDC
	v_cvt_pk_fp8_f32 v199, v222, v223 op_sel:[0,0,1]           // 000000003A7C: D2A240C7 0003BFDE
	ds_write_b32 v12, v192 offset:2048                         // 000000003A84: D81A0800 0000C00C
	ds_write_b32 v12, v193 offset:6144                         // 000000003A8C: D81A1800 0000C10C
	ds_write_b32 v12, v194 offset:3072                         // 000000003A94: D81A0C00 0000C20C
	ds_write_b32 v12, v195 offset:7168                         // 000000003A9C: D81A1C00 0000C30C
	ds_write_b32 v12, v196 offset:4096                         // 000000003AA4: D81A1000 0000C40C
	ds_write_b32 v12, v197 offset:8192                         // 000000003AAC: D81A2000 0000C50C
	ds_write_b32 v12, v198 offset:5120                         // 000000003AB4: D81A1400 0000C60C
	ds_write_b32 v12, v199 offset:9216                         // 000000003ABC: D81A2400 0000C70C
	s_waitcnt lgkmcnt(0)                                       // 000000003AC4: BF8CC07F
	s_barrier                                                  // 000000003AC8: BF8A0000
	ds_read_b64 v[192:193], v13 offset:2048                    // 000000003ACC: D8EC0800 C000000D
	ds_read_b64 v[194:195], v13 offset:2176                    // 000000003AD4: D8EC0880 C200000D
	ds_read_b64 v[196:197], v13 offset:3072                    // 000000003ADC: D8EC0C00 C400000D
	ds_read_b64 v[198:199], v13 offset:3200                    // 000000003AE4: D8EC0C80 C600000D
	ds_read_b64 v[200:201], v13 offset:4096                    // 000000003AEC: D8EC1000 C800000D
	ds_read_b64 v[202:203], v13 offset:4224                    // 000000003AF4: D8EC1080 CA00000D
	ds_read_b64 v[204:205], v13 offset:5120                    // 000000003AFC: D8EC1400 CC00000D
	ds_read_b64 v[206:207], v13 offset:5248                    // 000000003B04: D8EC1480 CE00000D
	ds_read_b64 v[208:209], v13 offset:6144                    // 000000003B0C: D8EC1800 D000000D
	ds_read_b64 v[210:211], v13 offset:6272                    // 000000003B14: D8EC1880 D200000D
	ds_read_b64 v[212:213], v13 offset:7168                    // 000000003B1C: D8EC1C00 D400000D
	ds_read_b64 v[214:215], v13 offset:7296                    // 000000003B24: D8EC1C80 D600000D
	ds_read_b64 v[216:217], v13 offset:8192                    // 000000003B2C: D8EC2000 D800000D
	ds_read_b64 v[218:219], v13 offset:8320                    // 000000003B34: D8EC2080 DA00000D
	ds_read_b64 v[220:221], v13 offset:9216                    // 000000003B3C: D8EC2400 DC00000D
	ds_read_b64 v[222:223], v13 offset:9344                    // 000000003B44: D8EC2480 DE00000D
	s_cmp_lt_i32 s5, 2                                         // 000000003B4C: BF048205
	s_cbranch_scc0 label_1B08                                  // 000000003B50: BF8416F3

0000000000003b54 <label_0415>:
	v_rcp_f32_e32 v44, v24                                     // 000000003B54: 7E584518
	v_rcp_f32_e32 v46, v25                                     // 000000003B58: 7E5C4519
	v_mov_b32_e32 v45, v44                                     // 000000003B5C: 7E5A032C
	v_mov_b32_e32 v47, v46                                     // 000000003B60: 7E5E032E
	v_pk_mul_f32 v[128:129], v[44:45], v[128:129]              // 000000003B64: D3B14080 1803012C
	v_pk_mul_f32 v[130:131], v[44:45], v[130:131]              // 000000003B6C: D3B14082 1803052C
	v_pk_mul_f32 v[132:133], v[46:47], v[132:133]              // 000000003B74: D3B14084 1803092E
	v_pk_mul_f32 v[134:135], v[46:47], v[134:135]              // 000000003B7C: D3B14086 18030D2E
	v_pk_mul_f32 v[136:137], v[44:45], v[136:137]              // 000000003B84: D3B14088 1803112C
	v_pk_mul_f32 v[138:139], v[44:45], v[138:139]              // 000000003B8C: D3B1408A 1803152C
	v_pk_mul_f32 v[140:141], v[46:47], v[140:141]              // 000000003B94: D3B1408C 1803192E
	v_pk_mul_f32 v[142:143], v[46:47], v[142:143]              // 000000003B9C: D3B1408E 18031D2E
	v_pk_mul_f32 v[144:145], v[44:45], v[144:145]              // 000000003BA4: D3B14090 1803212C
	v_pk_mul_f32 v[146:147], v[44:45], v[146:147]              // 000000003BAC: D3B14092 1803252C
	v_pk_mul_f32 v[148:149], v[46:47], v[148:149]              // 000000003BB4: D3B14094 1803292E
	v_pk_mul_f32 v[150:151], v[46:47], v[150:151]              // 000000003BBC: D3B14096 18032D2E
	v_pk_mul_f32 v[152:153], v[44:45], v[152:153]              // 000000003BC4: D3B14098 1803312C
	v_pk_mul_f32 v[154:155], v[44:45], v[154:155]              // 000000003BCC: D3B1409A 1803352C
	v_pk_mul_f32 v[156:157], v[46:47], v[156:157]              // 000000003BD4: D3B1409C 1803392E
	v_pk_mul_f32 v[158:159], v[46:47], v[158:159]              // 000000003BDC: D3B1409E 18033D2E
	v_pk_mul_f32 v[160:161], v[44:45], v[160:161]              // 000000003BE4: D3B140A0 1803412C
	v_pk_mul_f32 v[162:163], v[44:45], v[162:163]              // 000000003BEC: D3B140A2 1803452C
	v_pk_mul_f32 v[164:165], v[46:47], v[164:165]              // 000000003BF4: D3B140A4 1803492E
	v_pk_mul_f32 v[166:167], v[46:47], v[166:167]              // 000000003BFC: D3B140A6 18034D2E
	v_pk_mul_f32 v[168:169], v[44:45], v[168:169]              // 000000003C04: D3B140A8 1803512C
	v_pk_mul_f32 v[170:171], v[44:45], v[170:171]              // 000000003C0C: D3B140AA 1803552C
	v_pk_mul_f32 v[172:173], v[46:47], v[172:173]              // 000000003C14: D3B140AC 1803592E
	v_pk_mul_f32 v[174:175], v[46:47], v[174:175]              // 000000003C1C: D3B140AE 18035D2E
	v_pk_mul_f32 v[176:177], v[44:45], v[176:177]              // 000000003C24: D3B140B0 1803612C
	v_pk_mul_f32 v[178:179], v[44:45], v[178:179]              // 000000003C2C: D3B140B2 1803652C
	v_pk_mul_f32 v[180:181], v[46:47], v[180:181]              // 000000003C34: D3B140B4 1803692E
	v_pk_mul_f32 v[182:183], v[46:47], v[182:183]              // 000000003C3C: D3B140B6 18036D2E
	v_pk_mul_f32 v[184:185], v[44:45], v[184:185]              // 000000003C44: D3B140B8 1803712C
	v_pk_mul_f32 v[186:187], v[44:45], v[186:187]              // 000000003C4C: D3B140BA 1803752C
	v_pk_mul_f32 v[188:189], v[46:47], v[188:189]              // 000000003C54: D3B140BC 1803792E
	v_pk_mul_f32 v[190:191], v[46:47], v[190:191]              // 000000003C5C: D3B140BE 18037D2E
	s_waitcnt vmcnt(24) lgkmcnt(0)                             // 000000003C64: BF8C4078
	s_barrier                                                  // 000000003C68: BF8A0000
	v_mfma_f32_16x16x32_fp8_fp8 v[128:131], a[0:1], v[192:193], v[128:131]// 000000003C6C: D3F30080 0E038100
	v_mfma_f32_16x16x32_fp8_fp8 v[128:131], a[2:3], v[194:195], v[128:131]// 000000003C74: D3F30080 0E038502
	buffer_load_dwordx4 a[128:131], v36, s[92:95], 0 offen     // 000000003C7C: E05C1000 80978024
	v_mfma_f32_16x16x32_fp8_fp8 v[128:131], a[4:5], v[196:197], v[128:131]// 000000003C84: D3F30080 0E038904
	v_mfma_f32_16x16x32_fp8_fp8 v[128:131], a[6:7], v[198:199], v[128:131]// 000000003C8C: D3F30080 0E038D06
	buffer_load_dword v28, s[20:23], 0 offen lds               // 000000003C94: E0511000 8005001C
	buffer_load_dword v28, s[20:23], 0 offen offset:256 lds    // 000000003C9C: E0511100 8005001C
	s_add_u32 m0, 0x820, s51                                   // 000000003CA4: 807C33FF 00000820
	v_mfma_f32_16x16x32_fp8_fp8 v[128:131], a[8:9], v[200:201], v[128:131]// 000000003CAC: D3F30080 0E039108
	v_mfma_f32_16x16x32_fp8_fp8 v[128:131], a[10:11], v[202:203], v[128:131]// 000000003CB4: D3F30080 0E03950A
	buffer_load_dwordx4 a[132:135], v36, s[92:95], 0 offen offset:1024// 000000003CBC: E05C1400 80978424
	v_mfma_f32_16x16x32_fp8_fp8 v[128:131], a[12:13], v[204:205], v[128:131]// 000000003CC4: D3F30080 0E03990C
	v_mfma_f32_16x16x32_fp8_fp8 v[128:131], a[14:15], v[206:207], v[128:131]// 000000003CCC: D3F30080 0E039D0E
	buffer_load_dword v29, s[20:23], 0 offen lds               // 000000003CD4: E0511000 8005001D
	buffer_load_dword v29, s[20:23], 0 offen offset:256 lds    // 000000003CDC: E0511100 8005001D
	s_add_u32 m0, 0x1040, s51                                  // 000000003CE4: 807C33FF 00001040
	v_mfma_f32_16x16x32_fp8_fp8 v[132:135], a[0:1], v[208:209], v[132:135]// 000000003CEC: D3F30084 0E13A100
	v_mfma_f32_16x16x32_fp8_fp8 v[132:135], a[2:3], v[210:211], v[132:135]// 000000003CF4: D3F30084 0E13A502
	buffer_load_dwordx4 a[136:139], v36, s[92:95], 0 offen offset:2048// 000000003CFC: E05C1800 80978824
	v_mfma_f32_16x16x32_fp8_fp8 v[132:135], a[4:5], v[212:213], v[132:135]// 000000003D04: D3F30084 0E13A904
	v_mfma_f32_16x16x32_fp8_fp8 v[132:135], a[6:7], v[214:215], v[132:135]// 000000003D0C: D3F30084 0E13AD06
	buffer_load_dword v30, s[20:23], 0 offen lds               // 000000003D14: E0511000 8005001E
	buffer_load_dword v30, s[20:23], 0 offen offset:256 lds    // 000000003D1C: E0511100 8005001E
	s_add_u32 m0, 0x1860, s51                                  // 000000003D24: 807C33FF 00001860
	v_mfma_f32_16x16x32_fp8_fp8 v[132:135], a[8:9], v[216:217], v[132:135]// 000000003D2C: D3F30084 0E13B108
	v_mfma_f32_16x16x32_fp8_fp8 v[132:135], a[10:11], v[218:219], v[132:135]// 000000003D34: D3F30084 0E13B50A
	buffer_load_dwordx4 a[140:143], v36, s[92:95], 0 offen offset:3072// 000000003D3C: E05C1C00 80978C24
	v_mfma_f32_16x16x32_fp8_fp8 v[132:135], a[12:13], v[220:221], v[132:135]// 000000003D44: D3F30084 0E13B90C
	v_mfma_f32_16x16x32_fp8_fp8 v[132:135], a[14:15], v[222:223], v[132:135]// 000000003D4C: D3F30084 0E13BD0E
	buffer_load_dword v31, s[20:23], 0 offen lds               // 000000003D54: E0511000 8005001F
	buffer_load_dword v31, s[20:23], 0 offen offset:256 lds    // 000000003D5C: E0511100 8005001F
	s_add_u32 m0, 0x2080, s51                                  // 000000003D64: 807C33FF 00002080
	v_mfma_f32_16x16x32_fp8_fp8 v[136:139], a[16:17], v[192:193], v[136:139]// 000000003D6C: D3F30088 0E238110
	v_mfma_f32_16x16x32_fp8_fp8 v[136:139], a[18:19], v[194:195], v[136:139]// 000000003D74: D3F30088 0E238512
	buffer_load_dwordx4 a[144:147], v37, s[92:95], 0 offen     // 000000003D7C: E05C1000 80979025
	v_mfma_f32_16x16x32_fp8_fp8 v[136:139], a[20:21], v[196:197], v[136:139]// 000000003D84: D3F30088 0E238914
	v_mfma_f32_16x16x32_fp8_fp8 v[136:139], a[22:23], v[198:199], v[136:139]// 000000003D8C: D3F30088 0E238D16
	buffer_load_dword v32, s[20:23], 0 offen lds               // 000000003D94: E0511000 80050020
	buffer_load_dword v32, s[20:23], 0 offen offset:256 lds    // 000000003D9C: E0511100 80050020
	s_add_u32 m0, 0x28a0, s51                                  // 000000003DA4: 807C33FF 000028A0
	v_mfma_f32_16x16x32_fp8_fp8 v[136:139], a[24:25], v[200:201], v[136:139]// 000000003DAC: D3F30088 0E239118
	v_mfma_f32_16x16x32_fp8_fp8 v[136:139], a[26:27], v[202:203], v[136:139]// 000000003DB4: D3F30088 0E23951A
	buffer_load_dwordx4 a[148:151], v37, s[92:95], 0 offen offset:1024// 000000003DBC: E05C1400 80979425
	v_mfma_f32_16x16x32_fp8_fp8 v[136:139], a[28:29], v[204:205], v[136:139]// 000000003DC4: D3F30088 0E23991C
	v_mfma_f32_16x16x32_fp8_fp8 v[136:139], a[30:31], v[206:207], v[136:139]// 000000003DCC: D3F30088 0E239D1E
	buffer_load_dword v33, s[20:23], 0 offen lds               // 000000003DD4: E0511000 80050021
	buffer_load_dword v33, s[20:23], 0 offen offset:256 lds    // 000000003DDC: E0511100 80050021
	s_add_u32 m0, 0x30c0, s51                                  // 000000003DE4: 807C33FF 000030C0
	v_mfma_f32_16x16x32_fp8_fp8 v[140:143], a[16:17], v[208:209], v[140:143]// 000000003DEC: D3F3008C 0E33A110
	v_mfma_f32_16x16x32_fp8_fp8 v[140:143], a[18:19], v[210:211], v[140:143]// 000000003DF4: D3F3008C 0E33A512
	buffer_load_dwordx4 a[152:155], v37, s[92:95], 0 offen offset:2048// 000000003DFC: E05C1800 80979825
	v_mfma_f32_16x16x32_fp8_fp8 v[140:143], a[20:21], v[212:213], v[140:143]// 000000003E04: D3F3008C 0E33A914
	v_mfma_f32_16x16x32_fp8_fp8 v[140:143], a[22:23], v[214:215], v[140:143]// 000000003E0C: D3F3008C 0E33AD16
	buffer_load_dword v34, s[20:23], 0 offen lds               // 000000003E14: E0511000 80050022
	buffer_load_dword v34, s[20:23], 0 offen offset:256 lds    // 000000003E1C: E0511100 80050022
	s_add_u32 m0, 0x38e0, s51                                  // 000000003E24: 807C33FF 000038E0
	v_mfma_f32_16x16x32_fp8_fp8 v[140:143], a[24:25], v[216:217], v[140:143]// 000000003E2C: D3F3008C 0E33B118
	v_mfma_f32_16x16x32_fp8_fp8 v[140:143], a[26:27], v[218:219], v[140:143]// 000000003E34: D3F3008C 0E33B51A
	buffer_load_dwordx4 a[156:159], v37, s[92:95], 0 offen offset:3072// 000000003E3C: E05C1C00 80979C25
	v_mfma_f32_16x16x32_fp8_fp8 v[140:143], a[28:29], v[220:221], v[140:143]// 000000003E44: D3F3008C 0E33B91C
	v_mfma_f32_16x16x32_fp8_fp8 v[140:143], a[30:31], v[222:223], v[140:143]// 000000003E4C: D3F3008C 0E33BD1E
	buffer_load_dword v35, s[20:23], 0 offen lds               // 000000003E54: E0511000 80050023
	buffer_load_dword v35, s[20:23], 0 offen offset:256 lds    // 000000003E5C: E0511100 80050023
	s_add_u32 m0, 0, s50                                       // 000000003E64: 807C3280
	buffer_load_dword v15, v6, s[28:31], 0 offen               // 000000003E68: E0501000 80070F06
	s_waitcnt vmcnt(45)                                        // 000000003E70: BF8C8F7D
	v_mfma_f32_16x16x32_fp8_fp8 v[144:147], a[32:33], v[192:193], v[144:147]// 000000003E74: D3F30090 0E438120
	v_mfma_f32_16x16x32_fp8_fp8 v[144:147], a[34:35], v[194:195], v[144:147]// 000000003E7C: D3F30090 0E438522
	buffer_load_dwordx4 a[160:163], v38, s[92:95], 0 offen     // 000000003E84: E05C1000 8097A026
	v_mfma_f32_16x16x32_fp8_fp8 v[144:147], a[36:37], v[196:197], v[144:147]// 000000003E8C: D3F30090 0E438924
	v_mfma_f32_16x16x32_fp8_fp8 v[144:147], a[38:39], v[198:199], v[144:147]// 000000003E94: D3F30090 0E438D26
	v_mfma_f32_16x16x32_fp8_fp8 v[144:147], a[40:41], v[200:201], v[144:147]// 000000003E9C: D3F30090 0E439128
	v_mfma_f32_16x16x32_fp8_fp8 v[144:147], a[42:43], v[202:203], v[144:147]// 000000003EA4: D3F30090 0E43952A
	buffer_load_dwordx4 a[164:167], v38, s[92:95], 0 offen offset:1024// 000000003EAC: E05C1400 8097A426
	v_mfma_f32_16x16x32_fp8_fp8 v[144:147], a[44:45], v[204:205], v[144:147]// 000000003EB4: D3F30090 0E43992C
	v_mfma_f32_16x16x32_fp8_fp8 v[144:147], a[46:47], v[206:207], v[144:147]// 000000003EBC: D3F30090 0E439D2E
	v_mfma_f32_16x16x32_fp8_fp8 v[148:151], a[32:33], v[208:209], v[148:151]// 000000003EC4: D3F30094 0E53A120
	v_mfma_f32_16x16x32_fp8_fp8 v[148:151], a[34:35], v[210:211], v[148:151]// 000000003ECC: D3F30094 0E53A522
	buffer_load_dwordx4 a[168:171], v38, s[92:95], 0 offen offset:2048// 000000003ED4: E05C1800 8097A826
	v_mfma_f32_16x16x32_fp8_fp8 v[148:151], a[36:37], v[212:213], v[148:151]// 000000003EDC: D3F30094 0E53A924
	v_mfma_f32_16x16x32_fp8_fp8 v[148:151], a[38:39], v[214:215], v[148:151]// 000000003EE4: D3F30094 0E53AD26
	v_mfma_f32_16x16x32_fp8_fp8 v[148:151], a[40:41], v[216:217], v[148:151]// 000000003EEC: D3F30094 0E53B128
	v_mfma_f32_16x16x32_fp8_fp8 v[148:151], a[42:43], v[218:219], v[148:151]// 000000003EF4: D3F30094 0E53B52A
	buffer_load_dwordx4 a[172:175], v38, s[92:95], 0 offen offset:3072// 000000003EFC: E05C1C00 8097AC26
	v_mfma_f32_16x16x32_fp8_fp8 v[148:151], a[44:45], v[220:221], v[148:151]// 000000003F04: D3F30094 0E53B92C
	v_mfma_f32_16x16x32_fp8_fp8 v[148:151], a[46:47], v[222:223], v[148:151]// 000000003F0C: D3F30094 0E53BD2E
	s_waitcnt vmcnt(45)                                        // 000000003F14: BF8C8F7D
	v_mfma_f32_16x16x32_fp8_fp8 v[152:155], a[48:49], v[192:193], v[152:155]// 000000003F18: D3F30098 0E638130
	v_mfma_f32_16x16x32_fp8_fp8 v[152:155], a[50:51], v[194:195], v[152:155]// 000000003F20: D3F30098 0E638532
	buffer_load_dwordx4 a[176:179], v39, s[92:95], 0 offen     // 000000003F28: E05C1000 8097B027
	v_mfma_f32_16x16x32_fp8_fp8 v[152:155], a[52:53], v[196:197], v[152:155]// 000000003F30: D3F30098 0E638934
	v_mfma_f32_16x16x32_fp8_fp8 v[152:155], a[54:55], v[198:199], v[152:155]// 000000003F38: D3F30098 0E638D36
	v_mfma_f32_16x16x32_fp8_fp8 v[152:155], a[56:57], v[200:201], v[152:155]// 000000003F40: D3F30098 0E639138
	v_mfma_f32_16x16x32_fp8_fp8 v[152:155], a[58:59], v[202:203], v[152:155]// 000000003F48: D3F30098 0E63953A
	buffer_load_dwordx4 a[180:183], v39, s[92:95], 0 offen offset:1024// 000000003F50: E05C1400 8097B427
	v_mfma_f32_16x16x32_fp8_fp8 v[152:155], a[60:61], v[204:205], v[152:155]// 000000003F58: D3F30098 0E63993C
	v_mfma_f32_16x16x32_fp8_fp8 v[152:155], a[62:63], v[206:207], v[152:155]// 000000003F60: D3F30098 0E639D3E
	v_mfma_f32_16x16x32_fp8_fp8 v[156:159], a[48:49], v[208:209], v[156:159]// 000000003F68: D3F3009C 0E73A130
	v_mfma_f32_16x16x32_fp8_fp8 v[156:159], a[50:51], v[210:211], v[156:159]// 000000003F70: D3F3009C 0E73A532
	buffer_load_dwordx4 a[184:187], v39, s[92:95], 0 offen offset:2048// 000000003F78: E05C1800 8097B827
	v_mfma_f32_16x16x32_fp8_fp8 v[156:159], a[52:53], v[212:213], v[156:159]// 000000003F80: D3F3009C 0E73A934
	v_mfma_f32_16x16x32_fp8_fp8 v[156:159], a[54:55], v[214:215], v[156:159]// 000000003F88: D3F3009C 0E73AD36
	v_mfma_f32_16x16x32_fp8_fp8 v[156:159], a[56:57], v[216:217], v[156:159]// 000000003F90: D3F3009C 0E73B138
	v_mfma_f32_16x16x32_fp8_fp8 v[156:159], a[58:59], v[218:219], v[156:159]// 000000003F98: D3F3009C 0E73B53A
	buffer_load_dwordx4 a[188:191], v39, s[92:95], 0 offen offset:3072// 000000003FA0: E05C1C00 8097BC27
	v_mfma_f32_16x16x32_fp8_fp8 v[156:159], a[60:61], v[220:221], v[156:159]// 000000003FA8: D3F3009C 0E73B93C
	v_mfma_f32_16x16x32_fp8_fp8 v[156:159], a[62:63], v[222:223], v[156:159]// 000000003FB0: D3F3009C 0E73BD3E
	s_waitcnt vmcnt(45)                                        // 000000003FB8: BF8C8F7D
	v_mfma_f32_16x16x32_fp8_fp8 v[160:163], a[64:65], v[192:193], v[160:163]// 000000003FBC: D3F300A0 0E838140
	v_mfma_f32_16x16x32_fp8_fp8 v[160:163], a[66:67], v[194:195], v[160:163]// 000000003FC4: D3F300A0 0E838542
	buffer_load_dwordx4 a[192:195], v40, s[92:95], 0 offen     // 000000003FCC: E05C1000 8097C028
	v_mfma_f32_16x16x32_fp8_fp8 v[160:163], a[68:69], v[196:197], v[160:163]// 000000003FD4: D3F300A0 0E838944
	v_mfma_f32_16x16x32_fp8_fp8 v[160:163], a[70:71], v[198:199], v[160:163]// 000000003FDC: D3F300A0 0E838D46
	v_mfma_f32_16x16x32_fp8_fp8 v[160:163], a[72:73], v[200:201], v[160:163]// 000000003FE4: D3F300A0 0E839148
	v_mfma_f32_16x16x32_fp8_fp8 v[160:163], a[74:75], v[202:203], v[160:163]// 000000003FEC: D3F300A0 0E83954A
	buffer_load_dwordx4 a[196:199], v40, s[92:95], 0 offen offset:1024// 000000003FF4: E05C1400 8097C428
	v_mfma_f32_16x16x32_fp8_fp8 v[160:163], a[76:77], v[204:205], v[160:163]// 000000003FFC: D3F300A0 0E83994C
	v_mfma_f32_16x16x32_fp8_fp8 v[160:163], a[78:79], v[206:207], v[160:163]// 000000004004: D3F300A0 0E839D4E
	v_mfma_f32_16x16x32_fp8_fp8 v[164:167], a[64:65], v[208:209], v[164:167]// 00000000400C: D3F300A4 0E93A140
	v_mfma_f32_16x16x32_fp8_fp8 v[164:167], a[66:67], v[210:211], v[164:167]// 000000004014: D3F300A4 0E93A542
	buffer_load_dwordx4 a[200:203], v40, s[92:95], 0 offen offset:2048// 00000000401C: E05C1800 8097C828
	v_mfma_f32_16x16x32_fp8_fp8 v[164:167], a[68:69], v[212:213], v[164:167]// 000000004024: D3F300A4 0E93A944
	v_mfma_f32_16x16x32_fp8_fp8 v[164:167], a[70:71], v[214:215], v[164:167]// 00000000402C: D3F300A4 0E93AD46
	v_mfma_f32_16x16x32_fp8_fp8 v[164:167], a[72:73], v[216:217], v[164:167]// 000000004034: D3F300A4 0E93B148
	v_mfma_f32_16x16x32_fp8_fp8 v[164:167], a[74:75], v[218:219], v[164:167]// 00000000403C: D3F300A4 0E93B54A
	buffer_load_dwordx4 a[204:207], v40, s[92:95], 0 offen offset:3072// 000000004044: E05C1C00 8097CC28
	v_mfma_f32_16x16x32_fp8_fp8 v[164:167], a[76:77], v[220:221], v[164:167]// 00000000404C: D3F300A4 0E93B94C
	v_mfma_f32_16x16x32_fp8_fp8 v[164:167], a[78:79], v[222:223], v[164:167]// 000000004054: D3F300A4 0E93BD4E
	s_waitcnt vmcnt(45)                                        // 00000000405C: BF8C8F7D
	v_mfma_f32_16x16x32_fp8_fp8 v[168:171], a[80:81], v[192:193], v[168:171]// 000000004060: D3F300A8 0EA38150
	v_mfma_f32_16x16x32_fp8_fp8 v[168:171], a[82:83], v[194:195], v[168:171]// 000000004068: D3F300A8 0EA38552
	buffer_load_dwordx4 a[208:211], v41, s[92:95], 0 offen     // 000000004070: E05C1000 8097D029
	v_mfma_f32_16x16x32_fp8_fp8 v[168:171], a[84:85], v[196:197], v[168:171]// 000000004078: D3F300A8 0EA38954
	v_mfma_f32_16x16x32_fp8_fp8 v[168:171], a[86:87], v[198:199], v[168:171]// 000000004080: D3F300A8 0EA38D56
	v_mfma_f32_16x16x32_fp8_fp8 v[168:171], a[88:89], v[200:201], v[168:171]// 000000004088: D3F300A8 0EA39158
	v_mfma_f32_16x16x32_fp8_fp8 v[168:171], a[90:91], v[202:203], v[168:171]// 000000004090: D3F300A8 0EA3955A
	buffer_load_dwordx4 a[212:215], v41, s[92:95], 0 offen offset:1024// 000000004098: E05C1400 8097D429
	v_mfma_f32_16x16x32_fp8_fp8 v[168:171], a[92:93], v[204:205], v[168:171]// 0000000040A0: D3F300A8 0EA3995C
	v_mfma_f32_16x16x32_fp8_fp8 v[168:171], a[94:95], v[206:207], v[168:171]// 0000000040A8: D3F300A8 0EA39D5E
	v_mfma_f32_16x16x32_fp8_fp8 v[172:175], a[80:81], v[208:209], v[172:175]// 0000000040B0: D3F300AC 0EB3A150
	v_mfma_f32_16x16x32_fp8_fp8 v[172:175], a[82:83], v[210:211], v[172:175]// 0000000040B8: D3F300AC 0EB3A552
	buffer_load_dwordx4 a[216:219], v41, s[92:95], 0 offen offset:2048// 0000000040C0: E05C1800 8097D829
	v_mfma_f32_16x16x32_fp8_fp8 v[172:175], a[84:85], v[212:213], v[172:175]// 0000000040C8: D3F300AC 0EB3A954
	v_mfma_f32_16x16x32_fp8_fp8 v[172:175], a[86:87], v[214:215], v[172:175]// 0000000040D0: D3F300AC 0EB3AD56
	v_mfma_f32_16x16x32_fp8_fp8 v[172:175], a[88:89], v[216:217], v[172:175]// 0000000040D8: D3F300AC 0EB3B158
	v_mfma_f32_16x16x32_fp8_fp8 v[172:175], a[90:91], v[218:219], v[172:175]// 0000000040E0: D3F300AC 0EB3B55A
	buffer_load_dwordx4 a[220:223], v41, s[92:95], 0 offen offset:3072// 0000000040E8: E05C1C00 8097DC29
	v_mfma_f32_16x16x32_fp8_fp8 v[172:175], a[92:93], v[220:221], v[172:175]// 0000000040F0: D3F300AC 0EB3B95C
	v_mfma_f32_16x16x32_fp8_fp8 v[172:175], a[94:95], v[222:223], v[172:175]// 0000000040F8: D3F300AC 0EB3BD5E
	s_waitcnt vmcnt(45)                                        // 000000004100: BF8C8F7D
	v_mfma_f32_16x16x32_fp8_fp8 v[176:179], a[96:97], v[192:193], v[176:179]// 000000004104: D3F300B0 0EC38160
	v_mfma_f32_16x16x32_fp8_fp8 v[176:179], a[98:99], v[194:195], v[176:179]// 00000000410C: D3F300B0 0EC38562
	buffer_load_dwordx4 a[224:227], v42, s[92:95], 0 offen     // 000000004114: E05C1000 8097E02A
	v_mfma_f32_16x16x32_fp8_fp8 v[176:179], a[100:101], v[196:197], v[176:179]// 00000000411C: D3F300B0 0EC38964
	v_mfma_f32_16x16x32_fp8_fp8 v[176:179], a[102:103], v[198:199], v[176:179]// 000000004124: D3F300B0 0EC38D66
	v_mfma_f32_16x16x32_fp8_fp8 v[176:179], a[104:105], v[200:201], v[176:179]// 00000000412C: D3F300B0 0EC39168
	v_mfma_f32_16x16x32_fp8_fp8 v[176:179], a[106:107], v[202:203], v[176:179]// 000000004134: D3F300B0 0EC3956A
	buffer_load_dwordx4 a[228:231], v42, s[92:95], 0 offen offset:1024// 00000000413C: E05C1400 8097E42A
	v_mfma_f32_16x16x32_fp8_fp8 v[176:179], a[108:109], v[204:205], v[176:179]// 000000004144: D3F300B0 0EC3996C
	v_mfma_f32_16x16x32_fp8_fp8 v[176:179], a[110:111], v[206:207], v[176:179]// 00000000414C: D3F300B0 0EC39D6E
	v_mfma_f32_16x16x32_fp8_fp8 v[180:183], a[96:97], v[208:209], v[180:183]// 000000004154: D3F300B4 0ED3A160
	v_mfma_f32_16x16x32_fp8_fp8 v[180:183], a[98:99], v[210:211], v[180:183]// 00000000415C: D3F300B4 0ED3A562
	buffer_load_dwordx4 a[232:235], v42, s[92:95], 0 offen offset:2048// 000000004164: E05C1800 8097E82A
	v_mfma_f32_16x16x32_fp8_fp8 v[180:183], a[100:101], v[212:213], v[180:183]// 00000000416C: D3F300B4 0ED3A964
	v_mfma_f32_16x16x32_fp8_fp8 v[180:183], a[102:103], v[214:215], v[180:183]// 000000004174: D3F300B4 0ED3AD66
	v_mfma_f32_16x16x32_fp8_fp8 v[180:183], a[104:105], v[216:217], v[180:183]// 00000000417C: D3F300B4 0ED3B168
	v_mfma_f32_16x16x32_fp8_fp8 v[180:183], a[106:107], v[218:219], v[180:183]// 000000004184: D3F300B4 0ED3B56A
	buffer_load_dwordx4 a[236:239], v42, s[92:95], 0 offen offset:3072// 00000000418C: E05C1C00 8097EC2A
	v_mfma_f32_16x16x32_fp8_fp8 v[180:183], a[108:109], v[220:221], v[180:183]// 000000004194: D3F300B4 0ED3B96C
	v_mfma_f32_16x16x32_fp8_fp8 v[180:183], a[110:111], v[222:223], v[180:183]// 00000000419C: D3F300B4 0ED3BD6E
	s_waitcnt vmcnt(45)                                        // 0000000041A4: BF8C8F7D
	v_mfma_f32_16x16x32_fp8_fp8 v[184:187], a[112:113], v[192:193], v[184:187]// 0000000041A8: D3F300B8 0EE38170
	v_mfma_f32_16x16x32_fp8_fp8 v[184:187], a[114:115], v[194:195], v[184:187]// 0000000041B0: D3F300B8 0EE38572
	buffer_load_dwordx4 a[240:243], v43, s[92:95], 0 offen     // 0000000041B8: E05C1000 8097F02B
	v_mfma_f32_16x16x32_fp8_fp8 v[184:187], a[116:117], v[196:197], v[184:187]// 0000000041C0: D3F300B8 0EE38974
	v_mfma_f32_16x16x32_fp8_fp8 v[184:187], a[118:119], v[198:199], v[184:187]// 0000000041C8: D3F300B8 0EE38D76
	v_mfma_f32_16x16x32_fp8_fp8 v[184:187], a[120:121], v[200:201], v[184:187]// 0000000041D0: D3F300B8 0EE39178
	v_mfma_f32_16x16x32_fp8_fp8 v[184:187], a[122:123], v[202:203], v[184:187]// 0000000041D8: D3F300B8 0EE3957A
	buffer_load_dwordx4 a[244:247], v43, s[92:95], 0 offen offset:1024// 0000000041E0: E05C1400 8097F42B
	v_mfma_f32_16x16x32_fp8_fp8 v[184:187], a[124:125], v[204:205], v[184:187]// 0000000041E8: D3F300B8 0EE3997C
	v_mfma_f32_16x16x32_fp8_fp8 v[184:187], a[126:127], v[206:207], v[184:187]// 0000000041F0: D3F300B8 0EE39D7E
	v_mfma_f32_16x16x32_fp8_fp8 v[188:191], a[112:113], v[208:209], v[188:191]// 0000000041F8: D3F300BC 0EF3A170
	v_mfma_f32_16x16x32_fp8_fp8 v[188:191], a[114:115], v[210:211], v[188:191]// 000000004200: D3F300BC 0EF3A572
	buffer_load_dwordx4 a[248:251], v43, s[92:95], 0 offen offset:2048// 000000004208: E05C1800 8097F82B
	v_mfma_f32_16x16x32_fp8_fp8 v[188:191], a[116:117], v[212:213], v[188:191]// 000000004210: D3F300BC 0EF3A974
	v_mfma_f32_16x16x32_fp8_fp8 v[188:191], a[118:119], v[214:215], v[188:191]// 000000004218: D3F300BC 0EF3AD76
	v_mfma_f32_16x16x32_fp8_fp8 v[188:191], a[120:121], v[216:217], v[188:191]// 000000004220: D3F300BC 0EF3B178
	v_mfma_f32_16x16x32_fp8_fp8 v[188:191], a[122:123], v[218:219], v[188:191]// 000000004228: D3F300BC 0EF3B57A
	buffer_load_dwordx4 a[252:255], v43, s[92:95], 0 offen offset:3072// 000000004230: E05C1C00 8097FC2B
	v_mfma_f32_16x16x32_fp8_fp8 v[188:191], a[124:125], v[220:221], v[188:191]// 000000004238: D3F300BC 0EF3B97C
	v_mfma_f32_16x16x32_fp8_fp8 v[188:191], a[126:127], v[222:223], v[188:191]// 000000004240: D3F300BC 0EF3BD7E
	v_mov_b32_e32 v44, v24                                     // 000000004248: 7E580318
	v_mov_b32_e32 v46, v25                                     // 00000000424C: 7E5C0319
	v_mov_b32_e32 v45, v44                                     // 000000004250: 7E5A032C
	v_mov_b32_e32 v47, v46                                     // 000000004254: 7E5E032E
	v_pk_mul_f32 v[128:129], v[44:45], v[128:129]              // 000000004258: D3B14080 1803012C
	v_pk_mul_f32 v[130:131], v[44:45], v[130:131]              // 000000004260: D3B14082 1803052C
	v_pk_mul_f32 v[132:133], v[46:47], v[132:133]              // 000000004268: D3B14084 1803092E
	v_pk_mul_f32 v[134:135], v[46:47], v[134:135]              // 000000004270: D3B14086 18030D2E
	v_pk_mul_f32 v[136:137], v[44:45], v[136:137]              // 000000004278: D3B14088 1803112C
	v_pk_mul_f32 v[138:139], v[44:45], v[138:139]              // 000000004280: D3B1408A 1803152C
	v_pk_mul_f32 v[140:141], v[46:47], v[140:141]              // 000000004288: D3B1408C 1803192E
	v_pk_mul_f32 v[142:143], v[46:47], v[142:143]              // 000000004290: D3B1408E 18031D2E
	v_pk_mul_f32 v[144:145], v[44:45], v[144:145]              // 000000004298: D3B14090 1803212C
	v_pk_mul_f32 v[146:147], v[44:45], v[146:147]              // 0000000042A0: D3B14092 1803252C
	v_pk_mul_f32 v[148:149], v[46:47], v[148:149]              // 0000000042A8: D3B14094 1803292E
	v_pk_mul_f32 v[150:151], v[46:47], v[150:151]              // 0000000042B0: D3B14096 18032D2E
	v_pk_mul_f32 v[152:153], v[44:45], v[152:153]              // 0000000042B8: D3B14098 1803312C
	v_pk_mul_f32 v[154:155], v[44:45], v[154:155]              // 0000000042C0: D3B1409A 1803352C
	v_pk_mul_f32 v[156:157], v[46:47], v[156:157]              // 0000000042C8: D3B1409C 1803392E
	v_pk_mul_f32 v[158:159], v[46:47], v[158:159]              // 0000000042D0: D3B1409E 18033D2E
	v_pk_mul_f32 v[160:161], v[44:45], v[160:161]              // 0000000042D8: D3B140A0 1803412C
	v_pk_mul_f32 v[162:163], v[44:45], v[162:163]              // 0000000042E0: D3B140A2 1803452C
	v_pk_mul_f32 v[164:165], v[46:47], v[164:165]              // 0000000042E8: D3B140A4 1803492E
	v_pk_mul_f32 v[166:167], v[46:47], v[166:167]              // 0000000042F0: D3B140A6 18034D2E
	v_pk_mul_f32 v[168:169], v[44:45], v[168:169]              // 0000000042F8: D3B140A8 1803512C
	v_pk_mul_f32 v[170:171], v[44:45], v[170:171]              // 000000004300: D3B140AA 1803552C
	v_pk_mul_f32 v[172:173], v[46:47], v[172:173]              // 000000004308: D3B140AC 1803592E
	v_pk_mul_f32 v[174:175], v[46:47], v[174:175]              // 000000004310: D3B140AE 18035D2E
	v_pk_mul_f32 v[176:177], v[44:45], v[176:177]              // 000000004318: D3B140B0 1803612C
	v_pk_mul_f32 v[178:179], v[44:45], v[178:179]              // 000000004320: D3B140B2 1803652C
	v_pk_mul_f32 v[180:181], v[46:47], v[180:181]              // 000000004328: D3B140B4 1803692E
	v_pk_mul_f32 v[182:183], v[46:47], v[182:183]              // 000000004330: D3B140B6 18036D2E
	v_pk_mul_f32 v[184:185], v[44:45], v[184:185]              // 000000004338: D3B140B8 1803712C
	v_pk_mul_f32 v[186:187], v[44:45], v[186:187]              // 000000004340: D3B140BA 1803752C
	v_pk_mul_f32 v[188:189], v[46:47], v[188:189]              // 000000004348: D3B140BC 1803792E
	v_pk_mul_f32 v[190:191], v[46:47], v[190:191]              // 000000004350: D3B140BE 18037D2E
	v_rcp_f32_e32 v44, v24                                     // 000000004358: 7E584518
	v_rcp_f32_e32 v46, v25                                     // 00000000435C: 7E5C4519
	v_mov_b32_e32 v45, v44                                     // 000000004360: 7E5A032C
	v_mov_b32_e32 v47, v46                                     // 000000004364: 7E5E032E
	v_pk_mul_f32 v[64:65], v[44:45], v[64:65]                  // 000000004368: D3B14040 1802812C
	v_pk_mul_f32 v[66:67], v[44:45], v[66:67]                  // 000000004370: D3B14042 1802852C
	v_pk_mul_f32 v[68:69], v[46:47], v[68:69]                  // 000000004378: D3B14044 1802892E
	v_pk_mul_f32 v[70:71], v[46:47], v[70:71]                  // 000000004380: D3B14046 18028D2E
	v_pk_mul_f32 v[72:73], v[44:45], v[72:73]                  // 000000004388: D3B14048 1802912C
	v_pk_mul_f32 v[74:75], v[44:45], v[74:75]                  // 000000004390: D3B1404A 1802952C
	v_pk_mul_f32 v[76:77], v[46:47], v[76:77]                  // 000000004398: D3B1404C 1802992E
	v_pk_mul_f32 v[78:79], v[46:47], v[78:79]                  // 0000000043A0: D3B1404E 18029D2E
	v_pk_mul_f32 v[80:81], v[44:45], v[80:81]                  // 0000000043A8: D3B14050 1802A12C
	v_pk_mul_f32 v[82:83], v[44:45], v[82:83]                  // 0000000043B0: D3B14052 1802A52C
	v_pk_mul_f32 v[84:85], v[46:47], v[84:85]                  // 0000000043B8: D3B14054 1802A92E
	v_pk_mul_f32 v[86:87], v[46:47], v[86:87]                  // 0000000043C0: D3B14056 1802AD2E
	v_pk_mul_f32 v[88:89], v[44:45], v[88:89]                  // 0000000043C8: D3B14058 1802B12C
	v_pk_mul_f32 v[90:91], v[44:45], v[90:91]                  // 0000000043D0: D3B1405A 1802B52C
	v_pk_mul_f32 v[92:93], v[46:47], v[92:93]                  // 0000000043D8: D3B1405C 1802B92E
	v_pk_mul_f32 v[94:95], v[46:47], v[94:95]                  // 0000000043E0: D3B1405E 1802BD2E
	v_pk_mul_f32 v[96:97], v[44:45], v[96:97]                  // 0000000043E8: D3B14060 1802C12C
	v_pk_mul_f32 v[98:99], v[44:45], v[98:99]                  // 0000000043F0: D3B14062 1802C52C
	v_pk_mul_f32 v[100:101], v[46:47], v[100:101]              // 0000000043F8: D3B14064 1802C92E
	v_pk_mul_f32 v[102:103], v[46:47], v[102:103]              // 000000004400: D3B14066 1802CD2E
	v_pk_mul_f32 v[104:105], v[44:45], v[104:105]              // 000000004408: D3B14068 1802D12C
	v_pk_mul_f32 v[106:107], v[44:45], v[106:107]              // 000000004410: D3B1406A 1802D52C
	v_pk_mul_f32 v[108:109], v[46:47], v[108:109]              // 000000004418: D3B1406C 1802D92E
	v_pk_mul_f32 v[110:111], v[46:47], v[110:111]              // 000000004420: D3B1406E 1802DD2E
	v_pk_mul_f32 v[112:113], v[44:45], v[112:113]              // 000000004428: D3B14070 1802E12C
	v_pk_mul_f32 v[114:115], v[44:45], v[114:115]              // 000000004430: D3B14072 1802E52C
	v_pk_mul_f32 v[116:117], v[46:47], v[116:117]              // 000000004438: D3B14074 1802E92E
	v_pk_mul_f32 v[118:119], v[46:47], v[118:119]              // 000000004440: D3B14076 1802ED2E
	v_pk_mul_f32 v[120:121], v[44:45], v[120:121]              // 000000004448: D3B14078 1802F12C
	v_pk_mul_f32 v[122:123], v[44:45], v[122:123]              // 000000004450: D3B1407A 1802F52C
	v_pk_mul_f32 v[124:125], v[46:47], v[124:125]              // 000000004458: D3B1407C 1802F92E
	v_pk_mul_f32 v[126:127], v[46:47], v[126:127]              // 000000004460: D3B1407E 1802FD2E
	s_waitcnt vmcnt(24)                                        // 000000004468: BF8C4F78
	s_barrier                                                  // 00000000446C: BF8A0000
	v_mfma_f32_16x16x32_fp8_fp8 v[64:67], a[128:129], v[192:193], v[64:67]// 000000004470: D3F30040 0D038180
	ds_read_b64 v[224:225], v2 offset:18688                    // 000000004478: D8EC4900 E0000002
	ds_read_b64 v[228:229], v2 offset:27008                    // 000000004480: D8EC6980 E4000002
	v_mfma_f32_16x16x32_fp8_fp8 v[64:67], a[130:131], v[194:195], v[64:67]// 000000004488: D3F30040 0D038582
	buffer_load_dwordx4 a[0:3], v36, s[24:27], 0 offen         // 000000004490: E05C1000 80860024
	v_mfma_f32_16x16x32_fp8_fp8 v[64:67], a[132:133], v[196:197], v[64:67]// 000000004498: D3F30040 0D038984
	ds_read_b64 v[232:233], v2 offset:18816                    // 0000000044A0: D8EC4980 E8000002
	ds_read_b64 v[236:237], v2 offset:27136                    // 0000000044A8: D8EC6A00 EC000002
	v_mfma_f32_16x16x32_fp8_fp8 v[64:67], a[134:135], v[198:199], v[64:67]// 0000000044B0: D3F30040 0D038D86
	v_mfma_f32_16x16x32_fp8_fp8 v[64:67], a[136:137], v[200:201], v[64:67]// 0000000044B8: D3F30040 0D039188
	ds_read_b64 v[240:241], v2 offset:18944                    // 0000000044C0: D8EC4A00 F0000002
	ds_read_b64 v[244:245], v2 offset:27264                    // 0000000044C8: D8EC6A80 F4000002
	v_mfma_f32_16x16x32_fp8_fp8 v[64:67], a[138:139], v[202:203], v[64:67]// 0000000044D0: D3F30040 0D03958A
	buffer_load_dwordx4 a[4:7], v36, s[24:27], 0 offen offset:1024// 0000000044D8: E05C1400 80860424
	v_mfma_f32_16x16x32_fp8_fp8 v[64:67], a[140:141], v[204:205], v[64:67]// 0000000044E0: D3F30040 0D03998C
	ds_read_b64 v[248:249], v2 offset:19072                    // 0000000044E8: D8EC4A80 F8000002
	ds_read_b64 v[252:253], v2 offset:27392                    // 0000000044F0: D8EC6B00 FC000002
	v_mfma_f32_16x16x32_fp8_fp8 v[64:67], a[142:143], v[206:207], v[64:67]// 0000000044F8: D3F30040 0D039D8E
	s_waitcnt lgkmcnt(4)                                       // 000000004500: BF8CC47F
	v_and_b32_e32 v227, 0xffff0000, v225                       // 000000004504: 27C7C2FF FFFF0000
	v_lshlrev_b32_e32 v226, 16, v225                           // 00000000450C: 25C5C290
	v_and_b32_e32 v225, 0xffff0000, v224                       // 000000004510: 27C3C0FF FFFF0000
	v_lshlrev_b32_e32 v224, 16, v224                           // 000000004518: 25C1C090
	v_and_b32_e32 v231, 0xffff0000, v229                       // 00000000451C: 27CFCAFF FFFF0000
	v_lshlrev_b32_e32 v230, 16, v229                           // 000000004524: 25CDCA90
	v_and_b32_e32 v229, 0xffff0000, v228                       // 000000004528: 27CBC8FF FFFF0000
	v_lshlrev_b32_e32 v228, 16, v228                           // 000000004530: 25C9C890
	v_and_b32_e32 v235, 0xffff0000, v233                       // 000000004534: 27D7D2FF FFFF0000
	v_lshlrev_b32_e32 v234, 16, v233                           // 00000000453C: 25D5D290
	v_and_b32_e32 v233, 0xffff0000, v232                       // 000000004540: 27D3D0FF FFFF0000
	v_lshlrev_b32_e32 v232, 16, v232                           // 000000004548: 25D1D090
	v_and_b32_e32 v239, 0xffff0000, v237                       // 00000000454C: 27DFDAFF FFFF0000
	v_lshlrev_b32_e32 v238, 16, v237                           // 000000004554: 25DDDA90
	v_and_b32_e32 v237, 0xffff0000, v236                       // 000000004558: 27DBD8FF FFFF0000
	v_lshlrev_b32_e32 v236, 16, v236                           // 000000004560: 25D9D890
	v_mul_f32_dpp v224, v15, v224 row_newbcast:0 row_mask:0xf bank_mask:0xf// 000000004564: 0BC1C0FA FF01500F
	v_mul_f32_dpp v225, v15, v225 row_newbcast:1 row_mask:0xf bank_mask:0xf// 00000000456C: 0BC3C2FA FF01510F
	v_mul_f32_dpp v226, v15, v226 row_newbcast:2 row_mask:0xf bank_mask:0xf// 000000004574: 0BC5C4FA FF01520F
	v_mul_f32_dpp v227, v15, v227 row_newbcast:3 row_mask:0xf bank_mask:0xf// 00000000457C: 0BC7C6FA FF01530F
	v_mul_f32_dpp v228, v15, v228 row_newbcast:0 row_mask:0xf bank_mask:0xf// 000000004584: 0BC9C8FA FF01500F
	v_mul_f32_dpp v229, v15, v229 row_newbcast:1 row_mask:0xf bank_mask:0xf// 00000000458C: 0BCBCAFA FF01510F
	v_mul_f32_dpp v230, v15, v230 row_newbcast:2 row_mask:0xf bank_mask:0xf// 000000004594: 0BCDCCFA FF01520F
	v_mul_f32_dpp v231, v15, v231 row_newbcast:3 row_mask:0xf bank_mask:0xf// 00000000459C: 0BCFCEFA FF01530F
	v_mul_f32_dpp v232, v15, v232 row_newbcast:4 row_mask:0xf bank_mask:0xf// 0000000045A4: 0BD1D0FA FF01540F
	v_mul_f32_dpp v233, v15, v233 row_newbcast:5 row_mask:0xf bank_mask:0xf// 0000000045AC: 0BD3D2FA FF01550F
	v_mul_f32_dpp v234, v15, v234 row_newbcast:6 row_mask:0xf bank_mask:0xf// 0000000045B4: 0BD5D4FA FF01560F
	v_mul_f32_dpp v235, v15, v235 row_newbcast:7 row_mask:0xf bank_mask:0xf// 0000000045BC: 0BD7D6FA FF01570F
	v_mul_f32_dpp v236, v15, v236 row_newbcast:4 row_mask:0xf bank_mask:0xf// 0000000045C4: 0BD9D8FA FF01540F
	v_mul_f32_dpp v237, v15, v237 row_newbcast:5 row_mask:0xf bank_mask:0xf// 0000000045CC: 0BDBDAFA FF01550F
	v_mul_f32_dpp v238, v15, v238 row_newbcast:6 row_mask:0xf bank_mask:0xf// 0000000045D4: 0BDDDCFA FF01560F
	v_mul_f32_dpp v239, v15, v239 row_newbcast:7 row_mask:0xf bank_mask:0xf// 0000000045DC: 0BDFDEFA FF01570F
	v_mfma_f32_16x16x32_fp8_fp8 v[68:71], a[128:129], v[208:209], v[68:71]// 0000000045E4: D3F30044 0D13A180
	v_mfma_f32_16x16x32_fp8_fp8 v[68:71], a[130:131], v[210:211], v[68:71]// 0000000045EC: D3F30044 0D13A582
	buffer_load_dwordx4 a[8:11], v36, s[24:27], 0 offen offset:2048// 0000000045F4: E05C1800 80860824
	v_mfma_f32_16x16x32_fp8_fp8 v[68:71], a[132:133], v[212:213], v[68:71]// 0000000045FC: D3F30044 0D13A984
	v_mfma_f32_16x16x32_fp8_fp8 v[68:71], a[134:135], v[214:215], v[68:71]// 000000004604: D3F30044 0D13AD86
	v_mfma_f32_16x16x32_fp8_fp8 v[68:71], a[136:137], v[216:217], v[68:71]// 00000000460C: D3F30044 0D13B188
	v_mfma_f32_16x16x32_fp8_fp8 v[68:71], a[138:139], v[218:219], v[68:71]// 000000004614: D3F30044 0D13B58A
	buffer_load_dwordx4 a[12:15], v36, s[24:27], 0 offen offset:3072// 00000000461C: E05C1C00 80860C24
	v_mfma_f32_16x16x32_fp8_fp8 v[68:71], a[140:141], v[220:221], v[68:71]// 000000004624: D3F30044 0D13B98C
	v_mfma_f32_16x16x32_fp8_fp8 v[68:71], a[142:143], v[222:223], v[68:71]// 00000000462C: D3F30044 0D13BD8E
	s_waitcnt lgkmcnt(0)                                       // 000000004634: BF8CC07F
	v_and_b32_e32 v243, 0xffff0000, v241                       // 000000004638: 27E7E2FF FFFF0000
	v_lshlrev_b32_e32 v242, 16, v241                           // 000000004640: 25E5E290
	v_and_b32_e32 v241, 0xffff0000, v240                       // 000000004644: 27E3E0FF FFFF0000
	v_lshlrev_b32_e32 v240, 16, v240                           // 00000000464C: 25E1E090
	v_and_b32_e32 v247, 0xffff0000, v245                       // 000000004650: 27EFEAFF FFFF0000
	v_lshlrev_b32_e32 v246, 16, v245                           // 000000004658: 25EDEA90
	v_and_b32_e32 v245, 0xffff0000, v244                       // 00000000465C: 27EBE8FF FFFF0000
	v_lshlrev_b32_e32 v244, 16, v244                           // 000000004664: 25E9E890
	v_and_b32_e32 v251, 0xffff0000, v249                       // 000000004668: 27F7F2FF FFFF0000
	v_lshlrev_b32_e32 v250, 16, v249                           // 000000004670: 25F5F290
	v_and_b32_e32 v249, 0xffff0000, v248                       // 000000004674: 27F3F0FF FFFF0000
	v_lshlrev_b32_e32 v248, 16, v248                           // 00000000467C: 25F1F090
	v_and_b32_e32 v255, 0xffff0000, v253                       // 000000004680: 27FFFAFF FFFF0000
	v_lshlrev_b32_e32 v254, 16, v253                           // 000000004688: 25FDFA90
	v_and_b32_e32 v253, 0xffff0000, v252                       // 00000000468C: 27FBF8FF FFFF0000
	v_lshlrev_b32_e32 v252, 16, v252                           // 000000004694: 25F9F890
	v_mul_f32_dpp v240, v15, v240 row_newbcast:8 row_mask:0xf bank_mask:0xf// 000000004698: 0BE1E0FA FF01580F
	v_mul_f32_dpp v241, v15, v241 row_newbcast:9 row_mask:0xf bank_mask:0xf// 0000000046A0: 0BE3E2FA FF01590F
	v_mul_f32_dpp v242, v15, v242 row_newbcast:10 row_mask:0xf bank_mask:0xf// 0000000046A8: 0BE5E4FA FF015A0F
	v_mul_f32_dpp v243, v15, v243 row_newbcast:11 row_mask:0xf bank_mask:0xf// 0000000046B0: 0BE7E6FA FF015B0F
	v_mul_f32_dpp v244, v15, v244 row_newbcast:8 row_mask:0xf bank_mask:0xf// 0000000046B8: 0BE9E8FA FF01580F
	v_mul_f32_dpp v245, v15, v245 row_newbcast:9 row_mask:0xf bank_mask:0xf// 0000000046C0: 0BEBEAFA FF01590F
	v_mul_f32_dpp v246, v15, v246 row_newbcast:10 row_mask:0xf bank_mask:0xf// 0000000046C8: 0BEDECFA FF015A0F
	v_mul_f32_dpp v247, v15, v247 row_newbcast:11 row_mask:0xf bank_mask:0xf// 0000000046D0: 0BEFEEFA FF015B0F
	v_mul_f32_dpp v248, v15, v248 row_newbcast:12 row_mask:0xf bank_mask:0xf// 0000000046D8: 0BF1F0FA FF015C0F
	v_mul_f32_dpp v249, v15, v249 row_newbcast:13 row_mask:0xf bank_mask:0xf// 0000000046E0: 0BF3F2FA FF015D0F
	v_mul_f32_dpp v250, v15, v250 row_newbcast:14 row_mask:0xf bank_mask:0xf// 0000000046E8: 0BF5F4FA FF015E0F
	v_mul_f32_dpp v251, v15, v251 row_newbcast:15 row_mask:0xf bank_mask:0xf// 0000000046F0: 0BF7F6FA FF015F0F
	v_mul_f32_dpp v252, v15, v252 row_newbcast:12 row_mask:0xf bank_mask:0xf// 0000000046F8: 0BF9F8FA FF015C0F
	v_mul_f32_dpp v253, v15, v253 row_newbcast:13 row_mask:0xf bank_mask:0xf// 000000004700: 0BFBFAFA FF015D0F
	v_mul_f32_dpp v254, v15, v254 row_newbcast:14 row_mask:0xf bank_mask:0xf// 000000004708: 0BFDFCFA FF015E0F
	v_mul_f32_dpp v255, v15, v255 row_newbcast:15 row_mask:0xf bank_mask:0xf// 000000004710: 0BFFFEFA FF015F0F
	v_mfma_f32_16x16x32_fp8_fp8 v[72:75], a[144:145], v[192:193], v[72:75]// 000000004718: D3F30048 0D238190
	v_mfma_f32_16x16x32_fp8_fp8 v[72:75], a[146:147], v[194:195], v[72:75]// 000000004720: D3F30048 0D238592
	buffer_load_dwordx4 a[16:19], v37, s[24:27], 0 offen       // 000000004728: E05C1000 80861025
	v_mfma_f32_16x16x32_fp8_fp8 v[72:75], a[148:149], v[196:197], v[72:75]// 000000004730: D3F30048 0D238994
	v_mfma_f32_16x16x32_fp8_fp8 v[72:75], a[150:151], v[198:199], v[72:75]// 000000004738: D3F30048 0D238D96
	v_mfma_f32_16x16x32_fp8_fp8 v[72:75], a[152:153], v[200:201], v[72:75]// 000000004740: D3F30048 0D239198
	v_mfma_f32_16x16x32_fp8_fp8 v[72:75], a[154:155], v[202:203], v[72:75]// 000000004748: D3F30048 0D23959A
	buffer_load_dwordx4 a[20:23], v37, s[24:27], 0 offen offset:1024// 000000004750: E05C1400 80861425
	v_mfma_f32_16x16x32_fp8_fp8 v[72:75], a[156:157], v[204:205], v[72:75]// 000000004758: D3F30048 0D23999C
	v_mfma_f32_16x16x32_fp8_fp8 v[72:75], a[158:159], v[206:207], v[72:75]// 000000004760: D3F30048 0D239D9E
	v_mov_b32_e32 v48, 0x358637bd                              // 000000004768: 7E6002FF 358637BD
	v_mov_b32_e32 v49, 0x358637bd                              // 000000004770: 7E6202FF 358637BD
	v_max3_f32 v48, |v224|, |v225|, v48                        // 000000004778: D1D30330 04C3C3E0
	v_max3_f32 v48, |v226|, |v227|, v48                        // 000000004780: D1D30330 04C3C7E2
	v_max3_f32 v49, |v228|, |v229|, v49                        // 000000004788: D1D30331 04C7CBE4
	v_max3_f32 v49, |v230|, |v231|, v49                        // 000000004790: D1D30331 04C7CFE6
	v_max3_f32 v48, |v232|, |v233|, v48                        // 000000004798: D1D30330 04C3D3E8
	v_max3_f32 v48, |v234|, |v235|, v48                        // 0000000047A0: D1D30330 04C3D7EA
	v_max3_f32 v49, |v236|, |v237|, v49                        // 0000000047A8: D1D30331 04C7DBEC
	v_max3_f32 v49, |v238|, |v239|, v49                        // 0000000047B0: D1D30331 04C7DFEE
	v_max3_f32 v48, |v240|, |v241|, v48                        // 0000000047B8: D1D30330 04C3E3F0
	v_max3_f32 v48, |v242|, |v243|, v48                        // 0000000047C0: D1D30330 04C3E7F2
	v_max3_f32 v49, |v244|, |v245|, v49                        // 0000000047C8: D1D30331 04C7EBF4
	v_max3_f32 v49, |v246|, |v247|, v49                        // 0000000047D0: D1D30331 04C7EFF6
	v_max3_f32 v48, |v248|, |v249|, v48                        // 0000000047D8: D1D30330 04C3F3F8
	v_max3_f32 v48, |v250|, |v251|, v48                        // 0000000047E0: D1D30330 04C3F7FA
	v_max3_f32 v49, |v252|, |v253|, v49                        // 0000000047E8: D1D30331 04C7FBFC
	v_max3_f32 v49, |v254|, |v255|, v49                        // 0000000047F0: D1D30331 04C7FFFE
	v_mfma_f32_16x16x32_fp8_fp8 v[76:79], a[144:145], v[208:209], v[76:79]// 0000000047F8: D3F3004C 0D33A190
	ds_write_b64 v3, v[48:49]                                  // 000000004800: D89A0000 00003003
	v_mfma_f32_16x16x32_fp8_fp8 v[76:79], a[146:147], v[210:211], v[76:79]// 000000004808: D3F3004C 0D33A592
	buffer_load_dwordx4 a[24:27], v37, s[24:27], 0 offen offset:2048// 000000004810: E05C1800 80861825
	v_mfma_f32_16x16x32_fp8_fp8 v[76:79], a[148:149], v[212:213], v[76:79]// 000000004818: D3F3004C 0D33A994
	v_mfma_f32_16x16x32_fp8_fp8 v[76:79], a[150:151], v[214:215], v[76:79]// 000000004820: D3F3004C 0D33AD96
	v_mfma_f32_16x16x32_fp8_fp8 v[76:79], a[152:153], v[216:217], v[76:79]// 000000004828: D3F3004C 0D33B198
	v_mfma_f32_16x16x32_fp8_fp8 v[76:79], a[154:155], v[218:219], v[76:79]// 000000004830: D3F3004C 0D33B59A
	buffer_load_dwordx4 a[28:31], v37, s[24:27], 0 offen offset:3072// 000000004838: E05C1C00 80861C25
	v_mfma_f32_16x16x32_fp8_fp8 v[76:79], a[156:157], v[220:221], v[76:79]// 000000004840: D3F3004C 0D33B99C
	v_mfma_f32_16x16x32_fp8_fp8 v[76:79], a[158:159], v[222:223], v[76:79]// 000000004848: D3F3004C 0D33BD9E
	s_waitcnt lgkmcnt(0)                                       // 000000004850: BF8CC07F
	s_barrier                                                  // 000000004854: BF8A0000
	s_waitcnt vmcnt(28)                                        // 000000004858: BF8C4F7C
	v_mfma_f32_16x16x32_fp8_fp8 v[80:83], a[160:161], v[192:193], v[80:83]// 00000000485C: D3F30050 0D4381A0
	ds_read_b64 v[48:49], v4                                   // 000000004864: D8EC0000 30000004
	ds_read_b64 v[50:51], v4 offset:128                        // 00000000486C: D8EC0080 32000004
	v_mfma_f32_16x16x32_fp8_fp8 v[80:83], a[162:163], v[194:195], v[80:83]// 000000004874: D3F30050 0D4385A2
	buffer_load_dwordx4 a[32:35], v38, s[24:27], 0 offen       // 00000000487C: E05C1000 80862026
	v_mfma_f32_16x16x32_fp8_fp8 v[80:83], a[164:165], v[196:197], v[80:83]// 000000004884: D3F30050 0D4389A4
	ds_read_b64 v[52:53], v4 offset:256                        // 00000000488C: D8EC0100 34000004
	ds_read_b64 v[54:55], v4 offset:384                        // 000000004894: D8EC0180 36000004
	v_mfma_f32_16x16x32_fp8_fp8 v[80:83], a[166:167], v[198:199], v[80:83]// 00000000489C: D3F30050 0D438DA6
	v_mfma_f32_16x16x32_fp8_fp8 v[80:83], a[168:169], v[200:201], v[80:83]// 0000000048A4: D3F30050 0D4391A8
	ds_read_b64 v[56:57], v4 offset:512                        // 0000000048AC: D8EC0200 38000004
	ds_read_b64 v[58:59], v4 offset:640                        // 0000000048B4: D8EC0280 3A000004
	v_mfma_f32_16x16x32_fp8_fp8 v[80:83], a[170:171], v[202:203], v[80:83]// 0000000048BC: D3F30050 0D4395AA
	buffer_load_dwordx4 a[36:39], v38, s[24:27], 0 offen offset:1024// 0000000048C4: E05C1400 80862426
	v_mfma_f32_16x16x32_fp8_fp8 v[80:83], a[172:173], v[204:205], v[80:83]// 0000000048CC: D3F30050 0D4399AC
	ds_read_b64 v[60:61], v4 offset:768                        // 0000000048D4: D8EC0300 3C000004
	ds_read_b64 v[62:63], v4 offset:896                        // 0000000048DC: D8EC0380 3E000004
	v_mfma_f32_16x16x32_fp8_fp8 v[80:83], a[174:175], v[206:207], v[80:83]// 0000000048E4: D3F30050 0D439DAE
	s_waitcnt lgkmcnt(0)                                       // 0000000048EC: BF8CC07F
	v_mov_b32_e32 v22, 0x358637bd                              // 0000000048F0: 7E2C02FF 358637BD
	v_mov_b32_e32 v23, 0x358637bd                              // 0000000048F8: 7E2E02FF 358637BD
	v_max3_f32 v22, |v48|, |v50|, v22                          // 000000004900: D1D30316 045A6530
	v_max3_f32 v23, |v49|, |v51|, v23                          // 000000004908: D1D30317 045E6731
	v_max3_f32 v22, |v52|, |v54|, v22                          // 000000004910: D1D30316 045A6D34
	v_max3_f32 v23, |v53|, |v55|, v23                          // 000000004918: D1D30317 045E6F35
	v_max3_f32 v22, |v56|, |v58|, v22                          // 000000004920: D1D30316 045A7538
	v_max3_f32 v23, |v57|, |v59|, v23                          // 000000004928: D1D30317 045E7739
	v_max3_f32 v22, |v60|, |v62|, v22                          // 000000004930: D1D30316 045A7D3C
	v_max3_f32 v23, |v61|, |v63|, v23                          // 000000004938: D1D30317 045E7F3D
	v_mfma_f32_16x16x32_fp8_fp8 v[84:87], a[160:161], v[208:209], v[84:87]// 000000004940: D3F30054 0D53A1A0
	ds_read_b64 v[48:49], v4 offset:1024                       // 000000004948: D8EC0400 30000004
	ds_read_b64 v[50:51], v4 offset:1152                       // 000000004950: D8EC0480 32000004
	v_mfma_f32_16x16x32_fp8_fp8 v[84:87], a[162:163], v[210:211], v[84:87]// 000000004958: D3F30054 0D53A5A2
	buffer_load_dwordx4 a[40:43], v38, s[24:27], 0 offen offset:2048// 000000004960: E05C1800 80862826
	v_mfma_f32_16x16x32_fp8_fp8 v[84:87], a[164:165], v[212:213], v[84:87]// 000000004968: D3F30054 0D53A9A4
	ds_read_b64 v[52:53], v4 offset:1280                       // 000000004970: D8EC0500 34000004
	ds_read_b64 v[54:55], v4 offset:1408                       // 000000004978: D8EC0580 36000004
	v_mfma_f32_16x16x32_fp8_fp8 v[84:87], a[166:167], v[214:215], v[84:87]// 000000004980: D3F30054 0D53ADA6
	v_mfma_f32_16x16x32_fp8_fp8 v[84:87], a[168:169], v[216:217], v[84:87]// 000000004988: D3F30054 0D53B1A8
	ds_read_b64 v[56:57], v4 offset:1536                       // 000000004990: D8EC0600 38000004
	ds_read_b64 v[58:59], v4 offset:1664                       // 000000004998: D8EC0680 3A000004
	v_mfma_f32_16x16x32_fp8_fp8 v[84:87], a[170:171], v[218:219], v[84:87]// 0000000049A0: D3F30054 0D53B5AA
	buffer_load_dwordx4 a[44:47], v38, s[24:27], 0 offen offset:3072// 0000000049A8: E05C1C00 80862C26
	v_mfma_f32_16x16x32_fp8_fp8 v[84:87], a[172:173], v[220:221], v[84:87]// 0000000049B0: D3F30054 0D53B9AC
	ds_read_b64 v[60:61], v4 offset:1792                       // 0000000049B8: D8EC0700 3C000004
	ds_read_b64 v[62:63], v4 offset:1920                       // 0000000049C0: D8EC0780 3E000004
	v_mfma_f32_16x16x32_fp8_fp8 v[84:87], a[174:175], v[222:223], v[84:87]// 0000000049C8: D3F30054 0D53BDAE
	s_waitcnt vmcnt(28)                                        // 0000000049D0: BF8C4F7C
	v_mfma_f32_16x16x32_fp8_fp8 v[88:91], a[176:177], v[192:193], v[88:91]// 0000000049D4: D3F30058 0D6381B0
	v_mfma_f32_16x16x32_fp8_fp8 v[88:91], a[178:179], v[194:195], v[88:91]// 0000000049DC: D3F30058 0D6385B2
	buffer_load_dwordx4 a[48:51], v39, s[24:27], 0 offen       // 0000000049E4: E05C1000 80863027
	v_mfma_f32_16x16x32_fp8_fp8 v[88:91], a[180:181], v[196:197], v[88:91]// 0000000049EC: D3F30058 0D6389B4
	v_mfma_f32_16x16x32_fp8_fp8 v[88:91], a[182:183], v[198:199], v[88:91]// 0000000049F4: D3F30058 0D638DB6
	v_mfma_f32_16x16x32_fp8_fp8 v[88:91], a[184:185], v[200:201], v[88:91]// 0000000049FC: D3F30058 0D6391B8
	v_mfma_f32_16x16x32_fp8_fp8 v[88:91], a[186:187], v[202:203], v[88:91]// 000000004A04: D3F30058 0D6395BA
	buffer_load_dwordx4 a[52:55], v39, s[24:27], 0 offen offset:1024// 000000004A0C: E05C1400 80863427
	v_mfma_f32_16x16x32_fp8_fp8 v[88:91], a[188:189], v[204:205], v[88:91]// 000000004A14: D3F30058 0D6399BC
	v_mfma_f32_16x16x32_fp8_fp8 v[88:91], a[190:191], v[206:207], v[88:91]// 000000004A1C: D3F30058 0D639DBE
	s_waitcnt lgkmcnt(0)                                       // 000000004A24: BF8CC07F
	v_max3_f32 v22, |v48|, |v50|, v22                          // 000000004A28: D1D30316 045A6530
	v_max3_f32 v23, |v49|, |v51|, v23                          // 000000004A30: D1D30317 045E6731
	v_max3_f32 v22, |v52|, |v54|, v22                          // 000000004A38: D1D30316 045A6D34
	v_max3_f32 v23, |v53|, |v55|, v23                          // 000000004A40: D1D30317 045E6F35
	v_max3_f32 v22, |v56|, |v58|, v22                          // 000000004A48: D1D30316 045A7538
	v_max3_f32 v23, |v57|, |v59|, v23                          // 000000004A50: D1D30317 045E7739
	v_max3_f32 v22, |v60|, |v62|, v22                          // 000000004A58: D1D30316 045A7D3C
	v_max3_f32 v23, |v61|, |v63|, v23                          // 000000004A60: D1D30317 045E7F3D
	v_mov_b32_e32 v44, 0x43700000                              // 000000004A68: 7E5802FF 43700000
	v_rcp_f32_e32 v22, v22                                     // 000000004A70: 7E2C4516
	v_rcp_f32_e32 v23, v23                                     // 000000004A74: 7E2E4517
	s_nop 1                                                    // 000000004A78: BF800001
	v_mul_f32_e32 v22, v44, v22                                // 000000004A7C: 0A2C2D2C
	v_mul_f32_e32 v23, v44, v23                                // 000000004A80: 0A2E2F2C
	v_rcp_f32_e32 v26, v22                                     // 000000004A84: 7E344516
	v_rcp_f32_e32 v27, v23                                     // 000000004A88: 7E364517
	v_mov_b32_e32 v44, v22                                     // 000000004A8C: 7E580316
	v_mov_b32_e32 v45, v22                                     // 000000004A90: 7E5A0316
	v_mov_b32_e32 v46, v23                                     // 000000004A94: 7E5C0317
	v_mov_b32_e32 v47, v23                                     // 000000004A98: 7E5E0317
	v_mfma_f32_16x16x32_fp8_fp8 v[92:95], a[176:177], v[208:209], v[92:95]// 000000004A9C: D3F3005C 0D73A1B0
	v_mfma_f32_16x16x32_fp8_fp8 v[92:95], a[178:179], v[210:211], v[92:95]// 000000004AA4: D3F3005C 0D73A5B2
	buffer_load_dwordx4 a[56:59], v39, s[24:27], 0 offen offset:2048// 000000004AAC: E05C1800 80863827
	v_mfma_f32_16x16x32_fp8_fp8 v[92:95], a[180:181], v[212:213], v[92:95]// 000000004AB4: D3F3005C 0D73A9B4
	v_mfma_f32_16x16x32_fp8_fp8 v[92:95], a[182:183], v[214:215], v[92:95]// 000000004ABC: D3F3005C 0D73ADB6
	v_mfma_f32_16x16x32_fp8_fp8 v[92:95], a[184:185], v[216:217], v[92:95]// 000000004AC4: D3F3005C 0D73B1B8
	v_mfma_f32_16x16x32_fp8_fp8 v[92:95], a[186:187], v[218:219], v[92:95]// 000000004ACC: D3F3005C 0D73B5BA
	buffer_load_dwordx4 a[60:63], v39, s[24:27], 0 offen offset:3072// 000000004AD4: E05C1C00 80863C27
	v_mfma_f32_16x16x32_fp8_fp8 v[92:95], a[188:189], v[220:221], v[92:95]// 000000004ADC: D3F3005C 0D73B9BC
	v_mfma_f32_16x16x32_fp8_fp8 v[92:95], a[190:191], v[222:223], v[92:95]// 000000004AE4: D3F3005C 0D73BDBE
	v_pk_mul_f32 v[224:225], v[44:45], v[224:225]              // 000000004AEC: D3B140E0 1803C12C
	v_pk_mul_f32 v[226:227], v[44:45], v[226:227]              // 000000004AF4: D3B140E2 1803C52C
	v_cvt_pk_fp8_f32 v224, v224, v225                          // 000000004AFC: D2A200E0 0003C3E0
	v_cvt_pk_fp8_f32 v224, v226, v227 op_sel:[0,0,1]           // 000000004B04: D2A240E0 0003C7E2
	v_pk_mul_f32 v[228:229], v[46:47], v[228:229]              // 000000004B0C: D3B140E4 1803C92E
	v_pk_mul_f32 v[230:231], v[46:47], v[230:231]              // 000000004B14: D3B140E6 1803CD2E
	v_cvt_pk_fp8_f32 v225, v228, v229                          // 000000004B1C: D2A200E1 0003CBE4
	v_cvt_pk_fp8_f32 v225, v230, v231 op_sel:[0,0,1]           // 000000004B24: D2A240E1 0003CFE6
	s_waitcnt vmcnt(28)                                        // 000000004B2C: BF8C4F7C
	v_mfma_f32_16x16x32_fp8_fp8 v[96:99], a[192:193], v[192:193], v[96:99]// 000000004B30: D3F30060 0D8381C0
	v_mfma_f32_16x16x32_fp8_fp8 v[96:99], a[194:195], v[194:195], v[96:99]// 000000004B38: D3F30060 0D8385C2
	buffer_load_dwordx4 a[64:67], v40, s[24:27], 0 offen       // 000000004B40: E05C1000 80864028
	v_mfma_f32_16x16x32_fp8_fp8 v[96:99], a[196:197], v[196:197], v[96:99]// 000000004B48: D3F30060 0D8389C4
	v_mfma_f32_16x16x32_fp8_fp8 v[96:99], a[198:199], v[198:199], v[96:99]// 000000004B50: D3F30060 0D838DC6
	v_mfma_f32_16x16x32_fp8_fp8 v[96:99], a[200:201], v[200:201], v[96:99]// 000000004B58: D3F30060 0D8391C8
	v_mfma_f32_16x16x32_fp8_fp8 v[96:99], a[202:203], v[202:203], v[96:99]// 000000004B60: D3F30060 0D8395CA
	buffer_load_dwordx4 a[68:71], v40, s[24:27], 0 offen offset:1024// 000000004B68: E05C1400 80864428
	v_mfma_f32_16x16x32_fp8_fp8 v[96:99], a[204:205], v[204:205], v[96:99]// 000000004B70: D3F30060 0D8399CC
	v_mfma_f32_16x16x32_fp8_fp8 v[96:99], a[206:207], v[206:207], v[96:99]// 000000004B78: D3F30060 0D839DCE
	v_pk_mul_f32 v[232:233], v[44:45], v[232:233]              // 000000004B80: D3B140E8 1803D12C
	v_pk_mul_f32 v[234:235], v[44:45], v[234:235]              // 000000004B88: D3B140EA 1803D52C
	v_cvt_pk_fp8_f32 v226, v232, v233                          // 000000004B90: D2A200E2 0003D3E8
	v_cvt_pk_fp8_f32 v226, v234, v235 op_sel:[0,0,1]           // 000000004B98: D2A240E2 0003D7EA
	v_pk_mul_f32 v[236:237], v[46:47], v[236:237]              // 000000004BA0: D3B140EC 1803D92E
	v_pk_mul_f32 v[238:239], v[46:47], v[238:239]              // 000000004BA8: D3B140EE 1803DD2E
	v_cvt_pk_fp8_f32 v227, v236, v237                          // 000000004BB0: D2A200E3 0003DBEC
	v_cvt_pk_fp8_f32 v227, v238, v239 op_sel:[0,0,1]           // 000000004BB8: D2A240E3 0003DFEE
	v_mfma_f32_16x16x32_fp8_fp8 v[100:103], a[192:193], v[208:209], v[100:103]// 000000004BC0: D3F30064 0D93A1C0
	ds_write_b32 v12, v224 offset:2048                         // 000000004BC8: D81A0800 0000E00C
	v_mfma_f32_16x16x32_fp8_fp8 v[100:103], a[194:195], v[210:211], v[100:103]// 000000004BD0: D3F30064 0D93A5C2
	buffer_load_dwordx4 a[72:75], v40, s[24:27], 0 offen offset:2048// 000000004BD8: E05C1800 80864828
	v_mfma_f32_16x16x32_fp8_fp8 v[100:103], a[196:197], v[212:213], v[100:103]// 000000004BE0: D3F30064 0D93A9C4
	ds_write_b32 v12, v225 offset:6144                         // 000000004BE8: D81A1800 0000E10C
	v_mfma_f32_16x16x32_fp8_fp8 v[100:103], a[198:199], v[214:215], v[100:103]// 000000004BF0: D3F30064 0D93ADC6
	v_mfma_f32_16x16x32_fp8_fp8 v[100:103], a[200:201], v[216:217], v[100:103]// 000000004BF8: D3F30064 0D93B1C8
	ds_write_b32 v12, v226 offset:3072                         // 000000004C00: D81A0C00 0000E20C
	v_mfma_f32_16x16x32_fp8_fp8 v[100:103], a[202:203], v[218:219], v[100:103]// 000000004C08: D3F30064 0D93B5CA
	buffer_load_dwordx4 a[76:79], v40, s[24:27], 0 offen offset:3072// 000000004C10: E05C1C00 80864C28
	v_mfma_f32_16x16x32_fp8_fp8 v[100:103], a[204:205], v[220:221], v[100:103]// 000000004C18: D3F30064 0D93B9CC
	ds_write_b32 v12, v227 offset:7168                         // 000000004C20: D81A1C00 0000E30C
	v_mfma_f32_16x16x32_fp8_fp8 v[100:103], a[206:207], v[222:223], v[100:103]// 000000004C28: D3F30064 0D93BDCE
	v_pk_mul_f32 v[240:241], v[44:45], v[240:241]              // 000000004C30: D3B140F0 1803E12C
	v_pk_mul_f32 v[242:243], v[44:45], v[242:243]              // 000000004C38: D3B140F2 1803E52C
	v_cvt_pk_fp8_f32 v228, v240, v241                          // 000000004C40: D2A200E4 0003E3F0
	v_cvt_pk_fp8_f32 v228, v242, v243 op_sel:[0,0,1]           // 000000004C48: D2A240E4 0003E7F2
	v_pk_mul_f32 v[244:245], v[46:47], v[244:245]              // 000000004C50: D3B140F4 1803E92E
	v_pk_mul_f32 v[246:247], v[46:47], v[246:247]              // 000000004C58: D3B140F6 1803ED2E
	v_cvt_pk_fp8_f32 v229, v244, v245                          // 000000004C60: D2A200E5 0003EBF4
	v_cvt_pk_fp8_f32 v229, v246, v247 op_sel:[0,0,1]           // 000000004C68: D2A240E5 0003EFF6
	s_waitcnt vmcnt(28)                                        // 000000004C70: BF8C4F7C
	v_mfma_f32_16x16x32_fp8_fp8 v[104:107], a[208:209], v[192:193], v[104:107]// 000000004C74: D3F30068 0DA381D0
	v_mfma_f32_16x16x32_fp8_fp8 v[104:107], a[210:211], v[194:195], v[104:107]// 000000004C7C: D3F30068 0DA385D2
	buffer_load_dwordx4 a[80:83], v41, s[24:27], 0 offen       // 000000004C84: E05C1000 80865029
	v_mfma_f32_16x16x32_fp8_fp8 v[104:107], a[212:213], v[196:197], v[104:107]// 000000004C8C: D3F30068 0DA389D4
	v_mfma_f32_16x16x32_fp8_fp8 v[104:107], a[214:215], v[198:199], v[104:107]// 000000004C94: D3F30068 0DA38DD6
	v_mfma_f32_16x16x32_fp8_fp8 v[104:107], a[216:217], v[200:201], v[104:107]// 000000004C9C: D3F30068 0DA391D8
	v_mfma_f32_16x16x32_fp8_fp8 v[104:107], a[218:219], v[202:203], v[104:107]// 000000004CA4: D3F30068 0DA395DA
	buffer_load_dwordx4 a[84:87], v41, s[24:27], 0 offen offset:1024// 000000004CAC: E05C1400 80865429
	v_mfma_f32_16x16x32_fp8_fp8 v[104:107], a[220:221], v[204:205], v[104:107]// 000000004CB4: D3F30068 0DA399DC
	v_mfma_f32_16x16x32_fp8_fp8 v[104:107], a[222:223], v[206:207], v[104:107]// 000000004CBC: D3F30068 0DA39DDE
	v_pk_mul_f32 v[248:249], v[44:45], v[248:249]              // 000000004CC4: D3B140F8 1803F12C
	v_pk_mul_f32 v[250:251], v[44:45], v[250:251]              // 000000004CCC: D3B140FA 1803F52C
	v_cvt_pk_fp8_f32 v230, v248, v249                          // 000000004CD4: D2A200E6 0003F3F8
	v_cvt_pk_fp8_f32 v230, v250, v251 op_sel:[0,0,1]           // 000000004CDC: D2A240E6 0003F7FA
	v_pk_mul_f32 v[252:253], v[46:47], v[252:253]              // 000000004CE4: D3B140FC 1803F92E
	v_pk_mul_f32 v[254:255], v[46:47], v[254:255]              // 000000004CEC: D3B140FE 1803FD2E
	v_cvt_pk_fp8_f32 v231, v252, v253                          // 000000004CF4: D2A200E7 0003FBFC
	v_cvt_pk_fp8_f32 v231, v254, v255 op_sel:[0,0,1]           // 000000004CFC: D2A240E7 0003FFFE
	v_mfma_f32_16x16x32_fp8_fp8 v[108:111], a[208:209], v[208:209], v[108:111]// 000000004D04: D3F3006C 0DB3A1D0
	ds_write_b32 v12, v228 offset:4096                         // 000000004D0C: D81A1000 0000E40C
	v_mfma_f32_16x16x32_fp8_fp8 v[108:111], a[210:211], v[210:211], v[108:111]// 000000004D14: D3F3006C 0DB3A5D2
	buffer_load_dwordx4 a[88:91], v41, s[24:27], 0 offen offset:2048// 000000004D1C: E05C1800 80865829
	v_mfma_f32_16x16x32_fp8_fp8 v[108:111], a[212:213], v[212:213], v[108:111]// 000000004D24: D3F3006C 0DB3A9D4
	ds_write_b32 v12, v229 offset:8192                         // 000000004D2C: D81A2000 0000E50C
	v_mfma_f32_16x16x32_fp8_fp8 v[108:111], a[214:215], v[214:215], v[108:111]// 000000004D34: D3F3006C 0DB3ADD6
	v_mfma_f32_16x16x32_fp8_fp8 v[108:111], a[216:217], v[216:217], v[108:111]// 000000004D3C: D3F3006C 0DB3B1D8
	ds_write_b32 v12, v230 offset:5120                         // 000000004D44: D81A1400 0000E60C
	v_mfma_f32_16x16x32_fp8_fp8 v[108:111], a[218:219], v[218:219], v[108:111]// 000000004D4C: D3F3006C 0DB3B5DA
	buffer_load_dwordx4 a[92:95], v41, s[24:27], 0 offen offset:3072// 000000004D54: E05C1C00 80865C29
	v_mfma_f32_16x16x32_fp8_fp8 v[108:111], a[220:221], v[220:221], v[108:111]// 000000004D5C: D3F3006C 0DB3B9DC
	ds_write_b32 v12, v231 offset:9216                         // 000000004D64: D81A2400 0000E70C
	v_mfma_f32_16x16x32_fp8_fp8 v[108:111], a[222:223], v[222:223], v[108:111]// 000000004D6C: D3F3006C 0DB3BDDE
	s_waitcnt lgkmcnt(0)                                       // 000000004D74: BF8CC07F
	s_barrier                                                  // 000000004D78: BF8A0000
	s_waitcnt vmcnt(28)                                        // 000000004D7C: BF8C4F7C
	v_mfma_f32_16x16x32_fp8_fp8 v[112:115], a[224:225], v[192:193], v[112:115]// 000000004D80: D3F30070 0DC381E0
	ds_read_b64 v[224:225], v13 offset:2048                    // 000000004D88: D8EC0800 E000000D
	ds_read_b64 v[226:227], v13 offset:2176                    // 000000004D90: D8EC0880 E200000D
	v_mfma_f32_16x16x32_fp8_fp8 v[112:115], a[226:227], v[194:195], v[112:115]// 000000004D98: D3F30070 0DC385E2
	buffer_load_dwordx4 a[96:99], v42, s[24:27], 0 offen       // 000000004DA0: E05C1000 8086602A
	v_mfma_f32_16x16x32_fp8_fp8 v[112:115], a[228:229], v[196:197], v[112:115]// 000000004DA8: D3F30070 0DC389E4
	ds_read_b64 v[228:229], v13 offset:3072                    // 000000004DB0: D8EC0C00 E400000D
	ds_read_b64 v[230:231], v13 offset:3200                    // 000000004DB8: D8EC0C80 E600000D
	v_mfma_f32_16x16x32_fp8_fp8 v[112:115], a[230:231], v[198:199], v[112:115]// 000000004DC0: D3F30070 0DC38DE6
	v_mfma_f32_16x16x32_fp8_fp8 v[112:115], a[232:233], v[200:201], v[112:115]// 000000004DC8: D3F30070 0DC391E8
	ds_read_b64 v[232:233], v13 offset:4096                    // 000000004DD0: D8EC1000 E800000D
	ds_read_b64 v[234:235], v13 offset:4224                    // 000000004DD8: D8EC1080 EA00000D
	v_mfma_f32_16x16x32_fp8_fp8 v[112:115], a[234:235], v[202:203], v[112:115]// 000000004DE0: D3F30070 0DC395EA
	buffer_load_dwordx4 a[100:103], v42, s[24:27], 0 offen offset:1024// 000000004DE8: E05C1400 8086642A
	v_mfma_f32_16x16x32_fp8_fp8 v[112:115], a[236:237], v[204:205], v[112:115]// 000000004DF0: D3F30070 0DC399EC
	ds_read_b64 v[236:237], v13 offset:5120                    // 000000004DF8: D8EC1400 EC00000D
	ds_read_b64 v[238:239], v13 offset:5248                    // 000000004E00: D8EC1480 EE00000D
	v_mfma_f32_16x16x32_fp8_fp8 v[112:115], a[238:239], v[206:207], v[112:115]// 000000004E08: D3F30070 0DC39DEE
	v_mfma_f32_16x16x32_fp8_fp8 v[116:119], a[224:225], v[208:209], v[116:119]// 000000004E10: D3F30074 0DD3A1E0
	ds_read_b64 v[240:241], v13 offset:6144                    // 000000004E18: D8EC1800 F000000D
	ds_read_b64 v[242:243], v13 offset:6272                    // 000000004E20: D8EC1880 F200000D
	v_mfma_f32_16x16x32_fp8_fp8 v[116:119], a[226:227], v[210:211], v[116:119]// 000000004E28: D3F30074 0DD3A5E2
	buffer_load_dwordx4 a[104:107], v42, s[24:27], 0 offen offset:2048// 000000004E30: E05C1800 8086682A
	v_mfma_f32_16x16x32_fp8_fp8 v[116:119], a[228:229], v[212:213], v[116:119]// 000000004E38: D3F30074 0DD3A9E4
	ds_read_b64 v[244:245], v13 offset:7168                    // 000000004E40: D8EC1C00 F400000D
	ds_read_b64 v[246:247], v13 offset:7296                    // 000000004E48: D8EC1C80 F600000D
	v_mfma_f32_16x16x32_fp8_fp8 v[116:119], a[230:231], v[214:215], v[116:119]// 000000004E50: D3F30074 0DD3ADE6
	v_mfma_f32_16x16x32_fp8_fp8 v[116:119], a[232:233], v[216:217], v[116:119]// 000000004E58: D3F30074 0DD3B1E8
	ds_read_b64 v[248:249], v13 offset:8192                    // 000000004E60: D8EC2000 F800000D
	ds_read_b64 v[250:251], v13 offset:8320                    // 000000004E68: D8EC2080 FA00000D
	v_mfma_f32_16x16x32_fp8_fp8 v[116:119], a[234:235], v[218:219], v[116:119]// 000000004E70: D3F30074 0DD3B5EA
	buffer_load_dwordx4 a[108:111], v42, s[24:27], 0 offen offset:3072// 000000004E78: E05C1C00 80866C2A
	v_mfma_f32_16x16x32_fp8_fp8 v[116:119], a[236:237], v[220:221], v[116:119]// 000000004E80: D3F30074 0DD3B9EC
	ds_read_b64 v[252:253], v13 offset:9216                    // 000000004E88: D8EC2400 FC00000D
	ds_read_b64 v[254:255], v13 offset:9344                    // 000000004E90: D8EC2480 FE00000D
	v_mfma_f32_16x16x32_fp8_fp8 v[116:119], a[238:239], v[222:223], v[116:119]// 000000004E98: D3F30074 0DD3BDEE
	s_waitcnt vmcnt(28)                                        // 000000004EA0: BF8C4F7C
	v_mfma_f32_16x16x32_fp8_fp8 v[120:123], a[240:241], v[192:193], v[120:123]// 000000004EA4: D3F30078 0DE381F0
	v_mfma_f32_16x16x32_fp8_fp8 v[120:123], a[242:243], v[194:195], v[120:123]// 000000004EAC: D3F30078 0DE385F2
	buffer_load_dwordx4 a[112:115], v43, s[24:27], 0 offen     // 000000004EB4: E05C1000 8086702B
	v_mfma_f32_16x16x32_fp8_fp8 v[120:123], a[244:245], v[196:197], v[120:123]// 000000004EBC: D3F30078 0DE389F4
	v_mfma_f32_16x16x32_fp8_fp8 v[120:123], a[246:247], v[198:199], v[120:123]// 000000004EC4: D3F30078 0DE38DF6
	v_mfma_f32_16x16x32_fp8_fp8 v[120:123], a[248:249], v[200:201], v[120:123]// 000000004ECC: D3F30078 0DE391F8
	v_mfma_f32_16x16x32_fp8_fp8 v[120:123], a[250:251], v[202:203], v[120:123]// 000000004ED4: D3F30078 0DE395FA
	buffer_load_dwordx4 a[116:119], v43, s[24:27], 0 offen offset:1024// 000000004EDC: E05C1400 8086742B
	v_mfma_f32_16x16x32_fp8_fp8 v[120:123], a[252:253], v[204:205], v[120:123]// 000000004EE4: D3F30078 0DE399FC
	v_mfma_f32_16x16x32_fp8_fp8 v[120:123], a[254:255], v[206:207], v[120:123]// 000000004EEC: D3F30078 0DE39DFE
	v_mfma_f32_16x16x32_fp8_fp8 v[124:127], a[240:241], v[208:209], v[124:127]// 000000004EF4: D3F3007C 0DF3A1F0
	v_mfma_f32_16x16x32_fp8_fp8 v[124:127], a[242:243], v[210:211], v[124:127]// 000000004EFC: D3F3007C 0DF3A5F2
	buffer_load_dwordx4 a[120:123], v43, s[24:27], 0 offen offset:2048// 000000004F04: E05C1800 8086782B
	v_mfma_f32_16x16x32_fp8_fp8 v[124:127], a[244:245], v[212:213], v[124:127]// 000000004F0C: D3F3007C 0DF3A9F4
	v_mfma_f32_16x16x32_fp8_fp8 v[124:127], a[246:247], v[214:215], v[124:127]// 000000004F14: D3F3007C 0DF3ADF6
	v_mfma_f32_16x16x32_fp8_fp8 v[124:127], a[248:249], v[216:217], v[124:127]// 000000004F1C: D3F3007C 0DF3B1F8
	v_mfma_f32_16x16x32_fp8_fp8 v[124:127], a[250:251], v[218:219], v[124:127]// 000000004F24: D3F3007C 0DF3B5FA
	buffer_load_dwordx4 a[124:127], v43, s[24:27], 0 offen offset:3072// 000000004F2C: E05C1C00 80867C2B
	v_mfma_f32_16x16x32_fp8_fp8 v[124:127], a[252:253], v[220:221], v[124:127]// 000000004F34: D3F3007C 0DF3B9FC
	v_mfma_f32_16x16x32_fp8_fp8 v[124:127], a[254:255], v[222:223], v[124:127]// 000000004F3C: D3F3007C 0DF3BDFE
	s_add_u32 s60, 0x200, s80                                  // 000000004F44: 803C50FF 00000200
	s_cmp_lt_u32 s60, s81                                      // 000000004F4C: BF0A513C
	s_cselect_b32 s57, s57, 0                                  // 000000004F50: 85398039
	s_cselect_b32 s91, s91, 0                                  // 000000004F54: 855B805B
	s_add_u32 s60, 0x200, s80                                  // 000000004F58: 803C50FF 00000200
	s_cmp_lt_u32 s60, s81                                      // 000000004F60: BF0A513C
	s_cselect_b32 s58, s58, 0                                  // 000000004F64: 853A803A
	s_add_u32 s20, s57, s20                                    // 000000004F68: 80141439
	s_addc_u32 s21, 0, s21                                     // 000000004F6C: 82151580
	s_add_u32 s28, s91, s28                                    // 000000004F70: 801C1C5B
	s_addc_u32 s29, 0, s29                                     // 000000004F74: 821D1D80
	s_add_u32 s24, s58, s24                                    // 000000004F78: 8018183A
	s_addc_u32 s25, 0, s25                                     // 000000004F7C: 82191980
	s_add_u32 s92, s90, s92                                    // 000000004F80: 805C5C5A
	s_addc_u32 s93, 0, s93                                     // 000000004F84: 825D5D80
	v_mov_b32_e32 v44, v24                                     // 000000004F88: 7E580318
	v_mov_b32_e32 v46, v25                                     // 000000004F8C: 7E5C0319
	v_mov_b32_e32 v45, v44                                     // 000000004F90: 7E5A032C
	v_mov_b32_e32 v47, v46                                     // 000000004F94: 7E5E032E
	v_pk_mul_f32 v[64:65], v[44:45], v[64:65]                  // 000000004F98: D3B14040 1802812C
	v_pk_mul_f32 v[66:67], v[44:45], v[66:67]                  // 000000004FA0: D3B14042 1802852C
	v_pk_mul_f32 v[68:69], v[46:47], v[68:69]                  // 000000004FA8: D3B14044 1802892E
	v_pk_mul_f32 v[70:71], v[46:47], v[70:71]                  // 000000004FB0: D3B14046 18028D2E
	v_pk_mul_f32 v[72:73], v[44:45], v[72:73]                  // 000000004FB8: D3B14048 1802912C
	v_pk_mul_f32 v[74:75], v[44:45], v[74:75]                  // 000000004FC0: D3B1404A 1802952C
	v_pk_mul_f32 v[76:77], v[46:47], v[76:77]                  // 000000004FC8: D3B1404C 1802992E
	v_pk_mul_f32 v[78:79], v[46:47], v[78:79]                  // 000000004FD0: D3B1404E 18029D2E
	v_pk_mul_f32 v[80:81], v[44:45], v[80:81]                  // 000000004FD8: D3B14050 1802A12C
	v_pk_mul_f32 v[82:83], v[44:45], v[82:83]                  // 000000004FE0: D3B14052 1802A52C
	v_pk_mul_f32 v[84:85], v[46:47], v[84:85]                  // 000000004FE8: D3B14054 1802A92E
	v_pk_mul_f32 v[86:87], v[46:47], v[86:87]                  // 000000004FF0: D3B14056 1802AD2E
	v_pk_mul_f32 v[88:89], v[44:45], v[88:89]                  // 000000004FF8: D3B14058 1802B12C
	v_pk_mul_f32 v[90:91], v[44:45], v[90:91]                  // 000000005000: D3B1405A 1802B52C
	v_pk_mul_f32 v[92:93], v[46:47], v[92:93]                  // 000000005008: D3B1405C 1802B92E
	v_pk_mul_f32 v[94:95], v[46:47], v[94:95]                  // 000000005010: D3B1405E 1802BD2E
	v_pk_mul_f32 v[96:97], v[44:45], v[96:97]                  // 000000005018: D3B14060 1802C12C
	v_pk_mul_f32 v[98:99], v[44:45], v[98:99]                  // 000000005020: D3B14062 1802C52C
	v_pk_mul_f32 v[100:101], v[46:47], v[100:101]              // 000000005028: D3B14064 1802C92E
	v_pk_mul_f32 v[102:103], v[46:47], v[102:103]              // 000000005030: D3B14066 1802CD2E
	v_pk_mul_f32 v[104:105], v[44:45], v[104:105]              // 000000005038: D3B14068 1802D12C
	v_pk_mul_f32 v[106:107], v[44:45], v[106:107]              // 000000005040: D3B1406A 1802D52C
	v_pk_mul_f32 v[108:109], v[46:47], v[108:109]              // 000000005048: D3B1406C 1802D92E
	v_pk_mul_f32 v[110:111], v[46:47], v[110:111]              // 000000005050: D3B1406E 1802DD2E
	v_pk_mul_f32 v[112:113], v[44:45], v[112:113]              // 000000005058: D3B14070 1802E12C
	v_pk_mul_f32 v[114:115], v[44:45], v[114:115]              // 000000005060: D3B14072 1802E52C
	v_pk_mul_f32 v[116:117], v[46:47], v[116:117]              // 000000005068: D3B14074 1802E92E
	v_pk_mul_f32 v[118:119], v[46:47], v[118:119]              // 000000005070: D3B14076 1802ED2E
	v_pk_mul_f32 v[120:121], v[44:45], v[120:121]              // 000000005078: D3B14078 1802F12C
	v_pk_mul_f32 v[122:123], v[44:45], v[122:123]              // 000000005080: D3B1407A 1802F52C
	v_pk_mul_f32 v[124:125], v[46:47], v[124:125]              // 000000005088: D3B1407C 1802F92E
	v_pk_mul_f32 v[126:127], v[46:47], v[126:127]              // 000000005090: D3B1407E 1802FD2E
	s_addk_i32 s80, 0x100                                      // 000000005098: B7500100
	s_cmp_lt_i32 s80, s81                                      // 00000000509C: BF045150
	s_cbranch_scc0 label_0EBE                                  // 0000000050A0: BF840555
	v_rcp_f32_e32 v44, v26                                     // 0000000050A4: 7E58451A
	v_rcp_f32_e32 v46, v27                                     // 0000000050A8: 7E5C451B
	v_mov_b32_e32 v45, v44                                     // 0000000050AC: 7E5A032C
	v_mov_b32_e32 v47, v46                                     // 0000000050B0: 7E5E032E
	v_pk_mul_f32 v[128:129], v[44:45], v[128:129]              // 0000000050B4: D3B14080 1803012C
	v_pk_mul_f32 v[130:131], v[44:45], v[130:131]              // 0000000050BC: D3B14082 1803052C
	v_pk_mul_f32 v[132:133], v[46:47], v[132:133]              // 0000000050C4: D3B14084 1803092E
	v_pk_mul_f32 v[134:135], v[46:47], v[134:135]              // 0000000050CC: D3B14086 18030D2E
	v_pk_mul_f32 v[136:137], v[44:45], v[136:137]              // 0000000050D4: D3B14088 1803112C
	v_pk_mul_f32 v[138:139], v[44:45], v[138:139]              // 0000000050DC: D3B1408A 1803152C
	v_pk_mul_f32 v[140:141], v[46:47], v[140:141]              // 0000000050E4: D3B1408C 1803192E
	v_pk_mul_f32 v[142:143], v[46:47], v[142:143]              // 0000000050EC: D3B1408E 18031D2E
	v_pk_mul_f32 v[144:145], v[44:45], v[144:145]              // 0000000050F4: D3B14090 1803212C
	v_pk_mul_f32 v[146:147], v[44:45], v[146:147]              // 0000000050FC: D3B14092 1803252C
	v_pk_mul_f32 v[148:149], v[46:47], v[148:149]              // 000000005104: D3B14094 1803292E
	v_pk_mul_f32 v[150:151], v[46:47], v[150:151]              // 00000000510C: D3B14096 18032D2E
	v_pk_mul_f32 v[152:153], v[44:45], v[152:153]              // 000000005114: D3B14098 1803312C
	v_pk_mul_f32 v[154:155], v[44:45], v[154:155]              // 00000000511C: D3B1409A 1803352C
	v_pk_mul_f32 v[156:157], v[46:47], v[156:157]              // 000000005124: D3B1409C 1803392E
	v_pk_mul_f32 v[158:159], v[46:47], v[158:159]              // 00000000512C: D3B1409E 18033D2E
	v_pk_mul_f32 v[160:161], v[44:45], v[160:161]              // 000000005134: D3B140A0 1803412C
	v_pk_mul_f32 v[162:163], v[44:45], v[162:163]              // 00000000513C: D3B140A2 1803452C
	v_pk_mul_f32 v[164:165], v[46:47], v[164:165]              // 000000005144: D3B140A4 1803492E
	v_pk_mul_f32 v[166:167], v[46:47], v[166:167]              // 00000000514C: D3B140A6 18034D2E
	v_pk_mul_f32 v[168:169], v[44:45], v[168:169]              // 000000005154: D3B140A8 1803512C
	v_pk_mul_f32 v[170:171], v[44:45], v[170:171]              // 00000000515C: D3B140AA 1803552C
	v_pk_mul_f32 v[172:173], v[46:47], v[172:173]              // 000000005164: D3B140AC 1803592E
	v_pk_mul_f32 v[174:175], v[46:47], v[174:175]              // 00000000516C: D3B140AE 18035D2E
	v_pk_mul_f32 v[176:177], v[44:45], v[176:177]              // 000000005174: D3B140B0 1803612C
	v_pk_mul_f32 v[178:179], v[44:45], v[178:179]              // 00000000517C: D3B140B2 1803652C
	v_pk_mul_f32 v[180:181], v[46:47], v[180:181]              // 000000005184: D3B140B4 1803692E
	v_pk_mul_f32 v[182:183], v[46:47], v[182:183]              // 00000000518C: D3B140B6 18036D2E
	v_pk_mul_f32 v[184:185], v[44:45], v[184:185]              // 000000005194: D3B140B8 1803712C
	v_pk_mul_f32 v[186:187], v[44:45], v[186:187]              // 00000000519C: D3B140BA 1803752C
	v_pk_mul_f32 v[188:189], v[46:47], v[188:189]              // 0000000051A4: D3B140BC 1803792E
	v_pk_mul_f32 v[190:191], v[46:47], v[190:191]              // 0000000051AC: D3B140BE 18037D2E
	s_waitcnt vmcnt(24) lgkmcnt(0)                             // 0000000051B4: BF8C4078
	s_barrier                                                  // 0000000051B8: BF8A0000
	v_mfma_f32_16x16x32_fp8_fp8 v[128:131], a[0:1], v[224:225], v[128:131]// 0000000051BC: D3F30080 0E03C100
	v_mfma_f32_16x16x32_fp8_fp8 v[128:131], a[2:3], v[226:227], v[128:131]// 0000000051C4: D3F30080 0E03C502
	buffer_load_dwordx4 a[128:131], v36, s[92:95], 0 offen     // 0000000051CC: E05C1000 80978024
	v_mfma_f32_16x16x32_fp8_fp8 v[128:131], a[4:5], v[228:229], v[128:131]// 0000000051D4: D3F30080 0E03C904
	v_mfma_f32_16x16x32_fp8_fp8 v[128:131], a[6:7], v[230:231], v[128:131]// 0000000051DC: D3F30080 0E03CD06
	buffer_load_dword v28, s[20:23], 0 offen lds               // 0000000051E4: E0511000 8005001C
	buffer_load_dword v28, s[20:23], 0 offen offset:256 lds    // 0000000051EC: E0511100 8005001C
	s_add_u32 m0, 0x820, s50                                   // 0000000051F4: 807C32FF 00000820
	v_mfma_f32_16x16x32_fp8_fp8 v[128:131], a[8:9], v[232:233], v[128:131]// 0000000051FC: D3F30080 0E03D108
	v_mfma_f32_16x16x32_fp8_fp8 v[128:131], a[10:11], v[234:235], v[128:131]// 000000005204: D3F30080 0E03D50A
	buffer_load_dwordx4 a[132:135], v36, s[92:95], 0 offen offset:1024// 00000000520C: E05C1400 80978424
	v_mfma_f32_16x16x32_fp8_fp8 v[128:131], a[12:13], v[236:237], v[128:131]// 000000005214: D3F30080 0E03D90C
	v_mfma_f32_16x16x32_fp8_fp8 v[128:131], a[14:15], v[238:239], v[128:131]// 00000000521C: D3F30080 0E03DD0E
	buffer_load_dword v29, s[20:23], 0 offen lds               // 000000005224: E0511000 8005001D
	buffer_load_dword v29, s[20:23], 0 offen offset:256 lds    // 00000000522C: E0511100 8005001D
	s_add_u32 m0, 0x1040, s50                                  // 000000005234: 807C32FF 00001040
	v_mfma_f32_16x16x32_fp8_fp8 v[132:135], a[0:1], v[240:241], v[132:135]// 00000000523C: D3F30084 0E13E100
	v_mfma_f32_16x16x32_fp8_fp8 v[132:135], a[2:3], v[242:243], v[132:135]// 000000005244: D3F30084 0E13E502
	buffer_load_dwordx4 a[136:139], v36, s[92:95], 0 offen offset:2048// 00000000524C: E05C1800 80978824
	v_mfma_f32_16x16x32_fp8_fp8 v[132:135], a[4:5], v[244:245], v[132:135]// 000000005254: D3F30084 0E13E904
	v_mfma_f32_16x16x32_fp8_fp8 v[132:135], a[6:7], v[246:247], v[132:135]// 00000000525C: D3F30084 0E13ED06
	buffer_load_dword v30, s[20:23], 0 offen lds               // 000000005264: E0511000 8005001E
	buffer_load_dword v30, s[20:23], 0 offen offset:256 lds    // 00000000526C: E0511100 8005001E
	s_add_u32 m0, 0x1860, s50                                  // 000000005274: 807C32FF 00001860
	v_mfma_f32_16x16x32_fp8_fp8 v[132:135], a[8:9], v[248:249], v[132:135]// 00000000527C: D3F30084 0E13F108
	v_mfma_f32_16x16x32_fp8_fp8 v[132:135], a[10:11], v[250:251], v[132:135]// 000000005284: D3F30084 0E13F50A
	buffer_load_dwordx4 a[140:143], v36, s[92:95], 0 offen offset:3072// 00000000528C: E05C1C00 80978C24
	v_mfma_f32_16x16x32_fp8_fp8 v[132:135], a[12:13], v[252:253], v[132:135]// 000000005294: D3F30084 0E13F90C
	v_mfma_f32_16x16x32_fp8_fp8 v[132:135], a[14:15], v[254:255], v[132:135]// 00000000529C: D3F30084 0E13FD0E
	buffer_load_dword v31, s[20:23], 0 offen lds               // 0000000052A4: E0511000 8005001F
	buffer_load_dword v31, s[20:23], 0 offen offset:256 lds    // 0000000052AC: E0511100 8005001F
	s_add_u32 m0, 0x2080, s50                                  // 0000000052B4: 807C32FF 00002080
	v_mfma_f32_16x16x32_fp8_fp8 v[136:139], a[16:17], v[224:225], v[136:139]// 0000000052BC: D3F30088 0E23C110
	v_mfma_f32_16x16x32_fp8_fp8 v[136:139], a[18:19], v[226:227], v[136:139]// 0000000052C4: D3F30088 0E23C512
	buffer_load_dwordx4 a[144:147], v37, s[92:95], 0 offen     // 0000000052CC: E05C1000 80979025
	v_mfma_f32_16x16x32_fp8_fp8 v[136:139], a[20:21], v[228:229], v[136:139]// 0000000052D4: D3F30088 0E23C914
	v_mfma_f32_16x16x32_fp8_fp8 v[136:139], a[22:23], v[230:231], v[136:139]// 0000000052DC: D3F30088 0E23CD16
	buffer_load_dword v32, s[20:23], 0 offen lds               // 0000000052E4: E0511000 80050020
	buffer_load_dword v32, s[20:23], 0 offen offset:256 lds    // 0000000052EC: E0511100 80050020
	s_add_u32 m0, 0x28a0, s50                                  // 0000000052F4: 807C32FF 000028A0
	v_mfma_f32_16x16x32_fp8_fp8 v[136:139], a[24:25], v[232:233], v[136:139]// 0000000052FC: D3F30088 0E23D118
	v_mfma_f32_16x16x32_fp8_fp8 v[136:139], a[26:27], v[234:235], v[136:139]// 000000005304: D3F30088 0E23D51A
	buffer_load_dwordx4 a[148:151], v37, s[92:95], 0 offen offset:1024// 00000000530C: E05C1400 80979425
	v_mfma_f32_16x16x32_fp8_fp8 v[136:139], a[28:29], v[236:237], v[136:139]// 000000005314: D3F30088 0E23D91C
	v_mfma_f32_16x16x32_fp8_fp8 v[136:139], a[30:31], v[238:239], v[136:139]// 00000000531C: D3F30088 0E23DD1E
	buffer_load_dword v33, s[20:23], 0 offen lds               // 000000005324: E0511000 80050021
	buffer_load_dword v33, s[20:23], 0 offen offset:256 lds    // 00000000532C: E0511100 80050021
	s_add_u32 m0, 0x30c0, s50                                  // 000000005334: 807C32FF 000030C0
	v_mfma_f32_16x16x32_fp8_fp8 v[140:143], a[16:17], v[240:241], v[140:143]// 00000000533C: D3F3008C 0E33E110
	v_mfma_f32_16x16x32_fp8_fp8 v[140:143], a[18:19], v[242:243], v[140:143]// 000000005344: D3F3008C 0E33E512
	buffer_load_dwordx4 a[152:155], v37, s[92:95], 0 offen offset:2048// 00000000534C: E05C1800 80979825
	v_mfma_f32_16x16x32_fp8_fp8 v[140:143], a[20:21], v[244:245], v[140:143]// 000000005354: D3F3008C 0E33E914
	v_mfma_f32_16x16x32_fp8_fp8 v[140:143], a[22:23], v[246:247], v[140:143]// 00000000535C: D3F3008C 0E33ED16
	buffer_load_dword v34, s[20:23], 0 offen lds               // 000000005364: E0511000 80050022
	buffer_load_dword v34, s[20:23], 0 offen offset:256 lds    // 00000000536C: E0511100 80050022
	s_add_u32 m0, 0x38e0, s50                                  // 000000005374: 807C32FF 000038E0
	v_mfma_f32_16x16x32_fp8_fp8 v[140:143], a[24:25], v[248:249], v[140:143]// 00000000537C: D3F3008C 0E33F118
	v_mfma_f32_16x16x32_fp8_fp8 v[140:143], a[26:27], v[250:251], v[140:143]// 000000005384: D3F3008C 0E33F51A
	buffer_load_dwordx4 a[156:159], v37, s[92:95], 0 offen offset:3072// 00000000538C: E05C1C00 80979C25
	v_mfma_f32_16x16x32_fp8_fp8 v[140:143], a[28:29], v[252:253], v[140:143]// 000000005394: D3F3008C 0E33F91C
	v_mfma_f32_16x16x32_fp8_fp8 v[140:143], a[30:31], v[254:255], v[140:143]// 00000000539C: D3F3008C 0E33FD1E
	buffer_load_dword v35, s[20:23], 0 offen lds               // 0000000053A4: E0511000 80050023
	buffer_load_dword v35, s[20:23], 0 offen offset:256 lds    // 0000000053AC: E0511100 80050023
	s_add_u32 m0, 0, s51                                       // 0000000053B4: 807C3380
	buffer_load_dword v14, v6, s[28:31], 0 offen               // 0000000053B8: E0501000 80070E06
	s_waitcnt vmcnt(45)                                        // 0000000053C0: BF8C8F7D
	v_mfma_f32_16x16x32_fp8_fp8 v[144:147], a[32:33], v[224:225], v[144:147]// 0000000053C4: D3F30090 0E43C120
	v_mfma_f32_16x16x32_fp8_fp8 v[144:147], a[34:35], v[226:227], v[144:147]// 0000000053CC: D3F30090 0E43C522
	buffer_load_dwordx4 a[160:163], v38, s[92:95], 0 offen     // 0000000053D4: E05C1000 8097A026
	v_mfma_f32_16x16x32_fp8_fp8 v[144:147], a[36:37], v[228:229], v[144:147]// 0000000053DC: D3F30090 0E43C924
	v_mfma_f32_16x16x32_fp8_fp8 v[144:147], a[38:39], v[230:231], v[144:147]// 0000000053E4: D3F30090 0E43CD26
	v_mfma_f32_16x16x32_fp8_fp8 v[144:147], a[40:41], v[232:233], v[144:147]// 0000000053EC: D3F30090 0E43D128
	v_mfma_f32_16x16x32_fp8_fp8 v[144:147], a[42:43], v[234:235], v[144:147]// 0000000053F4: D3F30090 0E43D52A
	buffer_load_dwordx4 a[164:167], v38, s[92:95], 0 offen offset:1024// 0000000053FC: E05C1400 8097A426
	v_mfma_f32_16x16x32_fp8_fp8 v[144:147], a[44:45], v[236:237], v[144:147]// 000000005404: D3F30090 0E43D92C
	v_mfma_f32_16x16x32_fp8_fp8 v[144:147], a[46:47], v[238:239], v[144:147]// 00000000540C: D3F30090 0E43DD2E
	v_mfma_f32_16x16x32_fp8_fp8 v[148:151], a[32:33], v[240:241], v[148:151]// 000000005414: D3F30094 0E53E120
	v_mfma_f32_16x16x32_fp8_fp8 v[148:151], a[34:35], v[242:243], v[148:151]// 00000000541C: D3F30094 0E53E522
	buffer_load_dwordx4 a[168:171], v38, s[92:95], 0 offen offset:2048// 000000005424: E05C1800 8097A826
	v_mfma_f32_16x16x32_fp8_fp8 v[148:151], a[36:37], v[244:245], v[148:151]// 00000000542C: D3F30094 0E53E924
	v_mfma_f32_16x16x32_fp8_fp8 v[148:151], a[38:39], v[246:247], v[148:151]// 000000005434: D3F30094 0E53ED26
	v_mfma_f32_16x16x32_fp8_fp8 v[148:151], a[40:41], v[248:249], v[148:151]// 00000000543C: D3F30094 0E53F128
	v_mfma_f32_16x16x32_fp8_fp8 v[148:151], a[42:43], v[250:251], v[148:151]// 000000005444: D3F30094 0E53F52A
	buffer_load_dwordx4 a[172:175], v38, s[92:95], 0 offen offset:3072// 00000000544C: E05C1C00 8097AC26
	v_mfma_f32_16x16x32_fp8_fp8 v[148:151], a[44:45], v[252:253], v[148:151]// 000000005454: D3F30094 0E53F92C
	v_mfma_f32_16x16x32_fp8_fp8 v[148:151], a[46:47], v[254:255], v[148:151]// 00000000545C: D3F30094 0E53FD2E
	s_waitcnt vmcnt(45)                                        // 000000005464: BF8C8F7D
	v_mfma_f32_16x16x32_fp8_fp8 v[152:155], a[48:49], v[224:225], v[152:155]// 000000005468: D3F30098 0E63C130
	v_mfma_f32_16x16x32_fp8_fp8 v[152:155], a[50:51], v[226:227], v[152:155]// 000000005470: D3F30098 0E63C532
	buffer_load_dwordx4 a[176:179], v39, s[92:95], 0 offen     // 000000005478: E05C1000 8097B027
	v_mfma_f32_16x16x32_fp8_fp8 v[152:155], a[52:53], v[228:229], v[152:155]// 000000005480: D3F30098 0E63C934
	v_mfma_f32_16x16x32_fp8_fp8 v[152:155], a[54:55], v[230:231], v[152:155]// 000000005488: D3F30098 0E63CD36
	v_mfma_f32_16x16x32_fp8_fp8 v[152:155], a[56:57], v[232:233], v[152:155]// 000000005490: D3F30098 0E63D138
	v_mfma_f32_16x16x32_fp8_fp8 v[152:155], a[58:59], v[234:235], v[152:155]// 000000005498: D3F30098 0E63D53A
	buffer_load_dwordx4 a[180:183], v39, s[92:95], 0 offen offset:1024// 0000000054A0: E05C1400 8097B427
	v_mfma_f32_16x16x32_fp8_fp8 v[152:155], a[60:61], v[236:237], v[152:155]// 0000000054A8: D3F30098 0E63D93C
	v_mfma_f32_16x16x32_fp8_fp8 v[152:155], a[62:63], v[238:239], v[152:155]// 0000000054B0: D3F30098 0E63DD3E
	v_mfma_f32_16x16x32_fp8_fp8 v[156:159], a[48:49], v[240:241], v[156:159]// 0000000054B8: D3F3009C 0E73E130
	v_mfma_f32_16x16x32_fp8_fp8 v[156:159], a[50:51], v[242:243], v[156:159]// 0000000054C0: D3F3009C 0E73E532
	buffer_load_dwordx4 a[184:187], v39, s[92:95], 0 offen offset:2048// 0000000054C8: E05C1800 8097B827
	v_mfma_f32_16x16x32_fp8_fp8 v[156:159], a[52:53], v[244:245], v[156:159]// 0000000054D0: D3F3009C 0E73E934
	v_mfma_f32_16x16x32_fp8_fp8 v[156:159], a[54:55], v[246:247], v[156:159]// 0000000054D8: D3F3009C 0E73ED36
	v_mfma_f32_16x16x32_fp8_fp8 v[156:159], a[56:57], v[248:249], v[156:159]// 0000000054E0: D3F3009C 0E73F138
	v_mfma_f32_16x16x32_fp8_fp8 v[156:159], a[58:59], v[250:251], v[156:159]// 0000000054E8: D3F3009C 0E73F53A
	buffer_load_dwordx4 a[188:191], v39, s[92:95], 0 offen offset:3072// 0000000054F0: E05C1C00 8097BC27
	v_mfma_f32_16x16x32_fp8_fp8 v[156:159], a[60:61], v[252:253], v[156:159]// 0000000054F8: D3F3009C 0E73F93C
	v_mfma_f32_16x16x32_fp8_fp8 v[156:159], a[62:63], v[254:255], v[156:159]// 000000005500: D3F3009C 0E73FD3E
	s_waitcnt vmcnt(45)                                        // 000000005508: BF8C8F7D
	v_mfma_f32_16x16x32_fp8_fp8 v[160:163], a[64:65], v[224:225], v[160:163]// 00000000550C: D3F300A0 0E83C140
	v_mfma_f32_16x16x32_fp8_fp8 v[160:163], a[66:67], v[226:227], v[160:163]// 000000005514: D3F300A0 0E83C542
	buffer_load_dwordx4 a[192:195], v40, s[92:95], 0 offen     // 00000000551C: E05C1000 8097C028
	v_mfma_f32_16x16x32_fp8_fp8 v[160:163], a[68:69], v[228:229], v[160:163]// 000000005524: D3F300A0 0E83C944
	v_mfma_f32_16x16x32_fp8_fp8 v[160:163], a[70:71], v[230:231], v[160:163]// 00000000552C: D3F300A0 0E83CD46
	v_mfma_f32_16x16x32_fp8_fp8 v[160:163], a[72:73], v[232:233], v[160:163]// 000000005534: D3F300A0 0E83D148
	v_mfma_f32_16x16x32_fp8_fp8 v[160:163], a[74:75], v[234:235], v[160:163]// 00000000553C: D3F300A0 0E83D54A
	buffer_load_dwordx4 a[196:199], v40, s[92:95], 0 offen offset:1024// 000000005544: E05C1400 8097C428
	v_mfma_f32_16x16x32_fp8_fp8 v[160:163], a[76:77], v[236:237], v[160:163]// 00000000554C: D3F300A0 0E83D94C
	v_mfma_f32_16x16x32_fp8_fp8 v[160:163], a[78:79], v[238:239], v[160:163]// 000000005554: D3F300A0 0E83DD4E
	v_mfma_f32_16x16x32_fp8_fp8 v[164:167], a[64:65], v[240:241], v[164:167]// 00000000555C: D3F300A4 0E93E140
	v_mfma_f32_16x16x32_fp8_fp8 v[164:167], a[66:67], v[242:243], v[164:167]// 000000005564: D3F300A4 0E93E542
	buffer_load_dwordx4 a[200:203], v40, s[92:95], 0 offen offset:2048// 00000000556C: E05C1800 8097C828
	v_mfma_f32_16x16x32_fp8_fp8 v[164:167], a[68:69], v[244:245], v[164:167]// 000000005574: D3F300A4 0E93E944
	v_mfma_f32_16x16x32_fp8_fp8 v[164:167], a[70:71], v[246:247], v[164:167]// 00000000557C: D3F300A4 0E93ED46
	v_mfma_f32_16x16x32_fp8_fp8 v[164:167], a[72:73], v[248:249], v[164:167]// 000000005584: D3F300A4 0E93F148
	v_mfma_f32_16x16x32_fp8_fp8 v[164:167], a[74:75], v[250:251], v[164:167]// 00000000558C: D3F300A4 0E93F54A
	buffer_load_dwordx4 a[204:207], v40, s[92:95], 0 offen offset:3072// 000000005594: E05C1C00 8097CC28
	v_mfma_f32_16x16x32_fp8_fp8 v[164:167], a[76:77], v[252:253], v[164:167]// 00000000559C: D3F300A4 0E93F94C
	v_mfma_f32_16x16x32_fp8_fp8 v[164:167], a[78:79], v[254:255], v[164:167]// 0000000055A4: D3F300A4 0E93FD4E
	s_waitcnt vmcnt(45)                                        // 0000000055AC: BF8C8F7D
	v_mfma_f32_16x16x32_fp8_fp8 v[168:171], a[80:81], v[224:225], v[168:171]// 0000000055B0: D3F300A8 0EA3C150
	v_mfma_f32_16x16x32_fp8_fp8 v[168:171], a[82:83], v[226:227], v[168:171]// 0000000055B8: D3F300A8 0EA3C552
	buffer_load_dwordx4 a[208:211], v41, s[92:95], 0 offen     // 0000000055C0: E05C1000 8097D029
	v_mfma_f32_16x16x32_fp8_fp8 v[168:171], a[84:85], v[228:229], v[168:171]// 0000000055C8: D3F300A8 0EA3C954
	v_mfma_f32_16x16x32_fp8_fp8 v[168:171], a[86:87], v[230:231], v[168:171]// 0000000055D0: D3F300A8 0EA3CD56
	v_mfma_f32_16x16x32_fp8_fp8 v[168:171], a[88:89], v[232:233], v[168:171]// 0000000055D8: D3F300A8 0EA3D158
	v_mfma_f32_16x16x32_fp8_fp8 v[168:171], a[90:91], v[234:235], v[168:171]// 0000000055E0: D3F300A8 0EA3D55A
	buffer_load_dwordx4 a[212:215], v41, s[92:95], 0 offen offset:1024// 0000000055E8: E05C1400 8097D429
	v_mfma_f32_16x16x32_fp8_fp8 v[168:171], a[92:93], v[236:237], v[168:171]// 0000000055F0: D3F300A8 0EA3D95C
	v_mfma_f32_16x16x32_fp8_fp8 v[168:171], a[94:95], v[238:239], v[168:171]// 0000000055F8: D3F300A8 0EA3DD5E
	v_mfma_f32_16x16x32_fp8_fp8 v[172:175], a[80:81], v[240:241], v[172:175]// 000000005600: D3F300AC 0EB3E150
	v_mfma_f32_16x16x32_fp8_fp8 v[172:175], a[82:83], v[242:243], v[172:175]// 000000005608: D3F300AC 0EB3E552
	buffer_load_dwordx4 a[216:219], v41, s[92:95], 0 offen offset:2048// 000000005610: E05C1800 8097D829
	v_mfma_f32_16x16x32_fp8_fp8 v[172:175], a[84:85], v[244:245], v[172:175]// 000000005618: D3F300AC 0EB3E954
	v_mfma_f32_16x16x32_fp8_fp8 v[172:175], a[86:87], v[246:247], v[172:175]// 000000005620: D3F300AC 0EB3ED56
	v_mfma_f32_16x16x32_fp8_fp8 v[172:175], a[88:89], v[248:249], v[172:175]// 000000005628: D3F300AC 0EB3F158
	v_mfma_f32_16x16x32_fp8_fp8 v[172:175], a[90:91], v[250:251], v[172:175]// 000000005630: D3F300AC 0EB3F55A
	buffer_load_dwordx4 a[220:223], v41, s[92:95], 0 offen offset:3072// 000000005638: E05C1C00 8097DC29
	v_mfma_f32_16x16x32_fp8_fp8 v[172:175], a[92:93], v[252:253], v[172:175]// 000000005640: D3F300AC 0EB3F95C
	v_mfma_f32_16x16x32_fp8_fp8 v[172:175], a[94:95], v[254:255], v[172:175]// 000000005648: D3F300AC 0EB3FD5E
	s_waitcnt vmcnt(45)                                        // 000000005650: BF8C8F7D
	v_mfma_f32_16x16x32_fp8_fp8 v[176:179], a[96:97], v[224:225], v[176:179]// 000000005654: D3F300B0 0EC3C160
	v_mfma_f32_16x16x32_fp8_fp8 v[176:179], a[98:99], v[226:227], v[176:179]// 00000000565C: D3F300B0 0EC3C562
	buffer_load_dwordx4 a[224:227], v42, s[92:95], 0 offen     // 000000005664: E05C1000 8097E02A
	v_mfma_f32_16x16x32_fp8_fp8 v[176:179], a[100:101], v[228:229], v[176:179]// 00000000566C: D3F300B0 0EC3C964
	v_mfma_f32_16x16x32_fp8_fp8 v[176:179], a[102:103], v[230:231], v[176:179]// 000000005674: D3F300B0 0EC3CD66
	v_mfma_f32_16x16x32_fp8_fp8 v[176:179], a[104:105], v[232:233], v[176:179]// 00000000567C: D3F300B0 0EC3D168
	v_mfma_f32_16x16x32_fp8_fp8 v[176:179], a[106:107], v[234:235], v[176:179]// 000000005684: D3F300B0 0EC3D56A
	buffer_load_dwordx4 a[228:231], v42, s[92:95], 0 offen offset:1024// 00000000568C: E05C1400 8097E42A
	v_mfma_f32_16x16x32_fp8_fp8 v[176:179], a[108:109], v[236:237], v[176:179]// 000000005694: D3F300B0 0EC3D96C
	v_mfma_f32_16x16x32_fp8_fp8 v[176:179], a[110:111], v[238:239], v[176:179]// 00000000569C: D3F300B0 0EC3DD6E
	v_mfma_f32_16x16x32_fp8_fp8 v[180:183], a[96:97], v[240:241], v[180:183]// 0000000056A4: D3F300B4 0ED3E160
	v_mfma_f32_16x16x32_fp8_fp8 v[180:183], a[98:99], v[242:243], v[180:183]// 0000000056AC: D3F300B4 0ED3E562
	buffer_load_dwordx4 a[232:235], v42, s[92:95], 0 offen offset:2048// 0000000056B4: E05C1800 8097E82A
	v_mfma_f32_16x16x32_fp8_fp8 v[180:183], a[100:101], v[244:245], v[180:183]// 0000000056BC: D3F300B4 0ED3E964
	v_mfma_f32_16x16x32_fp8_fp8 v[180:183], a[102:103], v[246:247], v[180:183]// 0000000056C4: D3F300B4 0ED3ED66
	v_mfma_f32_16x16x32_fp8_fp8 v[180:183], a[104:105], v[248:249], v[180:183]// 0000000056CC: D3F300B4 0ED3F168
	v_mfma_f32_16x16x32_fp8_fp8 v[180:183], a[106:107], v[250:251], v[180:183]// 0000000056D4: D3F300B4 0ED3F56A
	buffer_load_dwordx4 a[236:239], v42, s[92:95], 0 offen offset:3072// 0000000056DC: E05C1C00 8097EC2A
	v_mfma_f32_16x16x32_fp8_fp8 v[180:183], a[108:109], v[252:253], v[180:183]// 0000000056E4: D3F300B4 0ED3F96C
	v_mfma_f32_16x16x32_fp8_fp8 v[180:183], a[110:111], v[254:255], v[180:183]// 0000000056EC: D3F300B4 0ED3FD6E
	s_waitcnt vmcnt(45)                                        // 0000000056F4: BF8C8F7D
	v_mfma_f32_16x16x32_fp8_fp8 v[184:187], a[112:113], v[224:225], v[184:187]// 0000000056F8: D3F300B8 0EE3C170
	v_mfma_f32_16x16x32_fp8_fp8 v[184:187], a[114:115], v[226:227], v[184:187]// 000000005700: D3F300B8 0EE3C572
	buffer_load_dwordx4 a[240:243], v43, s[92:95], 0 offen     // 000000005708: E05C1000 8097F02B
	v_mfma_f32_16x16x32_fp8_fp8 v[184:187], a[116:117], v[228:229], v[184:187]// 000000005710: D3F300B8 0EE3C974
	v_mfma_f32_16x16x32_fp8_fp8 v[184:187], a[118:119], v[230:231], v[184:187]// 000000005718: D3F300B8 0EE3CD76
	v_mfma_f32_16x16x32_fp8_fp8 v[184:187], a[120:121], v[232:233], v[184:187]// 000000005720: D3F300B8 0EE3D178
	v_mfma_f32_16x16x32_fp8_fp8 v[184:187], a[122:123], v[234:235], v[184:187]// 000000005728: D3F300B8 0EE3D57A
	buffer_load_dwordx4 a[244:247], v43, s[92:95], 0 offen offset:1024// 000000005730: E05C1400 8097F42B
	v_mfma_f32_16x16x32_fp8_fp8 v[184:187], a[124:125], v[236:237], v[184:187]// 000000005738: D3F300B8 0EE3D97C
	v_mfma_f32_16x16x32_fp8_fp8 v[184:187], a[126:127], v[238:239], v[184:187]// 000000005740: D3F300B8 0EE3DD7E
	v_mfma_f32_16x16x32_fp8_fp8 v[188:191], a[112:113], v[240:241], v[188:191]// 000000005748: D3F300BC 0EF3E170
	v_mfma_f32_16x16x32_fp8_fp8 v[188:191], a[114:115], v[242:243], v[188:191]// 000000005750: D3F300BC 0EF3E572
	buffer_load_dwordx4 a[248:251], v43, s[92:95], 0 offen offset:2048// 000000005758: E05C1800 8097F82B
	v_mfma_f32_16x16x32_fp8_fp8 v[188:191], a[116:117], v[244:245], v[188:191]// 000000005760: D3F300BC 0EF3E974
	v_mfma_f32_16x16x32_fp8_fp8 v[188:191], a[118:119], v[246:247], v[188:191]// 000000005768: D3F300BC 0EF3ED76
	v_mfma_f32_16x16x32_fp8_fp8 v[188:191], a[120:121], v[248:249], v[188:191]// 000000005770: D3F300BC 0EF3F178
	v_mfma_f32_16x16x32_fp8_fp8 v[188:191], a[122:123], v[250:251], v[188:191]// 000000005778: D3F300BC 0EF3F57A
	buffer_load_dwordx4 a[252:255], v43, s[92:95], 0 offen offset:3072// 000000005780: E05C1C00 8097FC2B
	v_mfma_f32_16x16x32_fp8_fp8 v[188:191], a[124:125], v[252:253], v[188:191]// 000000005788: D3F300BC 0EF3F97C
	v_mfma_f32_16x16x32_fp8_fp8 v[188:191], a[126:127], v[254:255], v[188:191]// 000000005790: D3F300BC 0EF3FD7E
	v_mov_b32_e32 v44, v26                                     // 000000005798: 7E58031A
	v_mov_b32_e32 v46, v27                                     // 00000000579C: 7E5C031B
	v_mov_b32_e32 v45, v44                                     // 0000000057A0: 7E5A032C
	v_mov_b32_e32 v47, v46                                     // 0000000057A4: 7E5E032E
	v_pk_mul_f32 v[128:129], v[44:45], v[128:129]              // 0000000057A8: D3B14080 1803012C
	v_pk_mul_f32 v[130:131], v[44:45], v[130:131]              // 0000000057B0: D3B14082 1803052C
	v_pk_mul_f32 v[132:133], v[46:47], v[132:133]              // 0000000057B8: D3B14084 1803092E
	v_pk_mul_f32 v[134:135], v[46:47], v[134:135]              // 0000000057C0: D3B14086 18030D2E
	v_pk_mul_f32 v[136:137], v[44:45], v[136:137]              // 0000000057C8: D3B14088 1803112C
	v_pk_mul_f32 v[138:139], v[44:45], v[138:139]              // 0000000057D0: D3B1408A 1803152C
	v_pk_mul_f32 v[140:141], v[46:47], v[140:141]              // 0000000057D8: D3B1408C 1803192E
	v_pk_mul_f32 v[142:143], v[46:47], v[142:143]              // 0000000057E0: D3B1408E 18031D2E
	v_pk_mul_f32 v[144:145], v[44:45], v[144:145]              // 0000000057E8: D3B14090 1803212C
	v_pk_mul_f32 v[146:147], v[44:45], v[146:147]              // 0000000057F0: D3B14092 1803252C
	v_pk_mul_f32 v[148:149], v[46:47], v[148:149]              // 0000000057F8: D3B14094 1803292E
	v_pk_mul_f32 v[150:151], v[46:47], v[150:151]              // 000000005800: D3B14096 18032D2E
	v_pk_mul_f32 v[152:153], v[44:45], v[152:153]              // 000000005808: D3B14098 1803312C
	v_pk_mul_f32 v[154:155], v[44:45], v[154:155]              // 000000005810: D3B1409A 1803352C
	v_pk_mul_f32 v[156:157], v[46:47], v[156:157]              // 000000005818: D3B1409C 1803392E
	v_pk_mul_f32 v[158:159], v[46:47], v[158:159]              // 000000005820: D3B1409E 18033D2E
	v_pk_mul_f32 v[160:161], v[44:45], v[160:161]              // 000000005828: D3B140A0 1803412C
	v_pk_mul_f32 v[162:163], v[44:45], v[162:163]              // 000000005830: D3B140A2 1803452C
	v_pk_mul_f32 v[164:165], v[46:47], v[164:165]              // 000000005838: D3B140A4 1803492E
	v_pk_mul_f32 v[166:167], v[46:47], v[166:167]              // 000000005840: D3B140A6 18034D2E
	v_pk_mul_f32 v[168:169], v[44:45], v[168:169]              // 000000005848: D3B140A8 1803512C
	v_pk_mul_f32 v[170:171], v[44:45], v[170:171]              // 000000005850: D3B140AA 1803552C
	v_pk_mul_f32 v[172:173], v[46:47], v[172:173]              // 000000005858: D3B140AC 1803592E
	v_pk_mul_f32 v[174:175], v[46:47], v[174:175]              // 000000005860: D3B140AE 18035D2E
	v_pk_mul_f32 v[176:177], v[44:45], v[176:177]              // 000000005868: D3B140B0 1803612C
	v_pk_mul_f32 v[178:179], v[44:45], v[178:179]              // 000000005870: D3B140B2 1803652C
	v_pk_mul_f32 v[180:181], v[46:47], v[180:181]              // 000000005878: D3B140B4 1803692E
	v_pk_mul_f32 v[182:183], v[46:47], v[182:183]              // 000000005880: D3B140B6 18036D2E
	v_pk_mul_f32 v[184:185], v[44:45], v[184:185]              // 000000005888: D3B140B8 1803712C
	v_pk_mul_f32 v[186:187], v[44:45], v[186:187]              // 000000005890: D3B140BA 1803752C
	v_pk_mul_f32 v[188:189], v[46:47], v[188:189]              // 000000005898: D3B140BC 1803792E
	v_pk_mul_f32 v[190:191], v[46:47], v[190:191]              // 0000000058A0: D3B140BE 18037D2E
	v_rcp_f32_e32 v44, v26                                     // 0000000058A8: 7E58451A
	v_rcp_f32_e32 v46, v27                                     // 0000000058AC: 7E5C451B
	v_mov_b32_e32 v45, v44                                     // 0000000058B0: 7E5A032C
	v_mov_b32_e32 v47, v46                                     // 0000000058B4: 7E5E032E
	v_pk_mul_f32 v[64:65], v[44:45], v[64:65]                  // 0000000058B8: D3B14040 1802812C
	v_pk_mul_f32 v[66:67], v[44:45], v[66:67]                  // 0000000058C0: D3B14042 1802852C
	v_pk_mul_f32 v[68:69], v[46:47], v[68:69]                  // 0000000058C8: D3B14044 1802892E
	v_pk_mul_f32 v[70:71], v[46:47], v[70:71]                  // 0000000058D0: D3B14046 18028D2E
	v_pk_mul_f32 v[72:73], v[44:45], v[72:73]                  // 0000000058D8: D3B14048 1802912C
	v_pk_mul_f32 v[74:75], v[44:45], v[74:75]                  // 0000000058E0: D3B1404A 1802952C
	v_pk_mul_f32 v[76:77], v[46:47], v[76:77]                  // 0000000058E8: D3B1404C 1802992E
	v_pk_mul_f32 v[78:79], v[46:47], v[78:79]                  // 0000000058F0: D3B1404E 18029D2E
	v_pk_mul_f32 v[80:81], v[44:45], v[80:81]                  // 0000000058F8: D3B14050 1802A12C
	v_pk_mul_f32 v[82:83], v[44:45], v[82:83]                  // 000000005900: D3B14052 1802A52C
	v_pk_mul_f32 v[84:85], v[46:47], v[84:85]                  // 000000005908: D3B14054 1802A92E
	v_pk_mul_f32 v[86:87], v[46:47], v[86:87]                  // 000000005910: D3B14056 1802AD2E
	v_pk_mul_f32 v[88:89], v[44:45], v[88:89]                  // 000000005918: D3B14058 1802B12C
	v_pk_mul_f32 v[90:91], v[44:45], v[90:91]                  // 000000005920: D3B1405A 1802B52C
	v_pk_mul_f32 v[92:93], v[46:47], v[92:93]                  // 000000005928: D3B1405C 1802B92E
	v_pk_mul_f32 v[94:95], v[46:47], v[94:95]                  // 000000005930: D3B1405E 1802BD2E
	v_pk_mul_f32 v[96:97], v[44:45], v[96:97]                  // 000000005938: D3B14060 1802C12C
	v_pk_mul_f32 v[98:99], v[44:45], v[98:99]                  // 000000005940: D3B14062 1802C52C
	v_pk_mul_f32 v[100:101], v[46:47], v[100:101]              // 000000005948: D3B14064 1802C92E
	v_pk_mul_f32 v[102:103], v[46:47], v[102:103]              // 000000005950: D3B14066 1802CD2E
	v_pk_mul_f32 v[104:105], v[44:45], v[104:105]              // 000000005958: D3B14068 1802D12C
	v_pk_mul_f32 v[106:107], v[44:45], v[106:107]              // 000000005960: D3B1406A 1802D52C
	v_pk_mul_f32 v[108:109], v[46:47], v[108:109]              // 000000005968: D3B1406C 1802D92E
	v_pk_mul_f32 v[110:111], v[46:47], v[110:111]              // 000000005970: D3B1406E 1802DD2E
	v_pk_mul_f32 v[112:113], v[44:45], v[112:113]              // 000000005978: D3B14070 1802E12C
	v_pk_mul_f32 v[114:115], v[44:45], v[114:115]              // 000000005980: D3B14072 1802E52C
	v_pk_mul_f32 v[116:117], v[46:47], v[116:117]              // 000000005988: D3B14074 1802E92E
	v_pk_mul_f32 v[118:119], v[46:47], v[118:119]              // 000000005990: D3B14076 1802ED2E
	v_pk_mul_f32 v[120:121], v[44:45], v[120:121]              // 000000005998: D3B14078 1802F12C
	v_pk_mul_f32 v[122:123], v[44:45], v[122:123]              // 0000000059A0: D3B1407A 1802F52C
	v_pk_mul_f32 v[124:125], v[46:47], v[124:125]              // 0000000059A8: D3B1407C 1802F92E
	v_pk_mul_f32 v[126:127], v[46:47], v[126:127]              // 0000000059B0: D3B1407E 1802FD2E
	s_waitcnt vmcnt(24)                                        // 0000000059B8: BF8C4F78
	s_barrier                                                  // 0000000059BC: BF8A0000
	v_mfma_f32_16x16x32_fp8_fp8 v[64:67], a[128:129], v[224:225], v[64:67]// 0000000059C0: D3F30040 0D03C180
	ds_read_b64 v[192:193], v2 offset:2048                     // 0000000059C8: D8EC0800 C0000002
	ds_read_b64 v[196:197], v2 offset:10368                    // 0000000059D0: D8EC2880 C4000002
	v_mfma_f32_16x16x32_fp8_fp8 v[64:67], a[130:131], v[226:227], v[64:67]// 0000000059D8: D3F30040 0D03C582
	buffer_load_dwordx4 a[0:3], v36, s[24:27], 0 offen         // 0000000059E0: E05C1000 80860024
	v_mfma_f32_16x16x32_fp8_fp8 v[64:67], a[132:133], v[228:229], v[64:67]// 0000000059E8: D3F30040 0D03C984
	ds_read_b64 v[200:201], v2 offset:2176                     // 0000000059F0: D8EC0880 C8000002
	ds_read_b64 v[204:205], v2 offset:10496                    // 0000000059F8: D8EC2900 CC000002
	v_mfma_f32_16x16x32_fp8_fp8 v[64:67], a[134:135], v[230:231], v[64:67]// 000000005A00: D3F30040 0D03CD86
	v_mfma_f32_16x16x32_fp8_fp8 v[64:67], a[136:137], v[232:233], v[64:67]// 000000005A08: D3F30040 0D03D188
	ds_read_b64 v[208:209], v2 offset:2304                     // 000000005A10: D8EC0900 D0000002
	ds_read_b64 v[212:213], v2 offset:10624                    // 000000005A18: D8EC2980 D4000002
	v_mfma_f32_16x16x32_fp8_fp8 v[64:67], a[138:139], v[234:235], v[64:67]// 000000005A20: D3F30040 0D03D58A
	buffer_load_dwordx4 a[4:7], v36, s[24:27], 0 offen offset:1024// 000000005A28: E05C1400 80860424
	v_mfma_f32_16x16x32_fp8_fp8 v[64:67], a[140:141], v[236:237], v[64:67]// 000000005A30: D3F30040 0D03D98C
	ds_read_b64 v[216:217], v2 offset:2432                     // 000000005A38: D8EC0980 D8000002
	ds_read_b64 v[220:221], v2 offset:10752                    // 000000005A40: D8EC2A00 DC000002
	v_mfma_f32_16x16x32_fp8_fp8 v[64:67], a[142:143], v[238:239], v[64:67]// 000000005A48: D3F30040 0D03DD8E
	s_waitcnt lgkmcnt(4)                                       // 000000005A50: BF8CC47F
	v_and_b32_e32 v195, 0xffff0000, v193                       // 000000005A54: 278782FF FFFF0000
	v_lshlrev_b32_e32 v194, 16, v193                           // 000000005A5C: 25858290
	v_and_b32_e32 v193, 0xffff0000, v192                       // 000000005A60: 278380FF FFFF0000
	v_lshlrev_b32_e32 v192, 16, v192                           // 000000005A68: 25818090
	v_and_b32_e32 v199, 0xffff0000, v197                       // 000000005A6C: 278F8AFF FFFF0000
	v_lshlrev_b32_e32 v198, 16, v197                           // 000000005A74: 258D8A90
	v_and_b32_e32 v197, 0xffff0000, v196                       // 000000005A78: 278B88FF FFFF0000
	v_lshlrev_b32_e32 v196, 16, v196                           // 000000005A80: 25898890
	v_and_b32_e32 v203, 0xffff0000, v201                       // 000000005A84: 279792FF FFFF0000
	v_lshlrev_b32_e32 v202, 16, v201                           // 000000005A8C: 25959290
	v_and_b32_e32 v201, 0xffff0000, v200                       // 000000005A90: 279390FF FFFF0000
	v_lshlrev_b32_e32 v200, 16, v200                           // 000000005A98: 25919090
	v_and_b32_e32 v207, 0xffff0000, v205                       // 000000005A9C: 279F9AFF FFFF0000
	v_lshlrev_b32_e32 v206, 16, v205                           // 000000005AA4: 259D9A90
	v_and_b32_e32 v205, 0xffff0000, v204                       // 000000005AA8: 279B98FF FFFF0000
	v_lshlrev_b32_e32 v204, 16, v204                           // 000000005AB0: 25999890
	v_mul_f32_dpp v192, v14, v192 row_newbcast:0 row_mask:0xf bank_mask:0xf// 000000005AB4: 0B8180FA FF01500E
	v_mul_f32_dpp v193, v14, v193 row_newbcast:1 row_mask:0xf bank_mask:0xf// 000000005ABC: 0B8382FA FF01510E
	v_mul_f32_dpp v194, v14, v194 row_newbcast:2 row_mask:0xf bank_mask:0xf// 000000005AC4: 0B8584FA FF01520E
	v_mul_f32_dpp v195, v14, v195 row_newbcast:3 row_mask:0xf bank_mask:0xf// 000000005ACC: 0B8786FA FF01530E
	v_mul_f32_dpp v196, v14, v196 row_newbcast:0 row_mask:0xf bank_mask:0xf// 000000005AD4: 0B8988FA FF01500E
	v_mul_f32_dpp v197, v14, v197 row_newbcast:1 row_mask:0xf bank_mask:0xf// 000000005ADC: 0B8B8AFA FF01510E
	v_mul_f32_dpp v198, v14, v198 row_newbcast:2 row_mask:0xf bank_mask:0xf// 000000005AE4: 0B8D8CFA FF01520E
	v_mul_f32_dpp v199, v14, v199 row_newbcast:3 row_mask:0xf bank_mask:0xf// 000000005AEC: 0B8F8EFA FF01530E
	v_mul_f32_dpp v200, v14, v200 row_newbcast:4 row_mask:0xf bank_mask:0xf// 000000005AF4: 0B9190FA FF01540E
	v_mul_f32_dpp v201, v14, v201 row_newbcast:5 row_mask:0xf bank_mask:0xf// 000000005AFC: 0B9392FA FF01550E
	v_mul_f32_dpp v202, v14, v202 row_newbcast:6 row_mask:0xf bank_mask:0xf// 000000005B04: 0B9594FA FF01560E
	v_mul_f32_dpp v203, v14, v203 row_newbcast:7 row_mask:0xf bank_mask:0xf// 000000005B0C: 0B9796FA FF01570E
	v_mul_f32_dpp v204, v14, v204 row_newbcast:4 row_mask:0xf bank_mask:0xf// 000000005B14: 0B9998FA FF01540E
	v_mul_f32_dpp v205, v14, v205 row_newbcast:5 row_mask:0xf bank_mask:0xf// 000000005B1C: 0B9B9AFA FF01550E
	v_mul_f32_dpp v206, v14, v206 row_newbcast:6 row_mask:0xf bank_mask:0xf// 000000005B24: 0B9D9CFA FF01560E
	v_mul_f32_dpp v207, v14, v207 row_newbcast:7 row_mask:0xf bank_mask:0xf// 000000005B2C: 0B9F9EFA FF01570E
	v_mfma_f32_16x16x32_fp8_fp8 v[68:71], a[128:129], v[240:241], v[68:71]// 000000005B34: D3F30044 0D13E180
	v_mfma_f32_16x16x32_fp8_fp8 v[68:71], a[130:131], v[242:243], v[68:71]// 000000005B3C: D3F30044 0D13E582
	buffer_load_dwordx4 a[8:11], v36, s[24:27], 0 offen offset:2048// 000000005B44: E05C1800 80860824
	v_mfma_f32_16x16x32_fp8_fp8 v[68:71], a[132:133], v[244:245], v[68:71]// 000000005B4C: D3F30044 0D13E984
	v_mfma_f32_16x16x32_fp8_fp8 v[68:71], a[134:135], v[246:247], v[68:71]// 000000005B54: D3F30044 0D13ED86
	v_mfma_f32_16x16x32_fp8_fp8 v[68:71], a[136:137], v[248:249], v[68:71]// 000000005B5C: D3F30044 0D13F188
	v_mfma_f32_16x16x32_fp8_fp8 v[68:71], a[138:139], v[250:251], v[68:71]// 000000005B64: D3F30044 0D13F58A
	buffer_load_dwordx4 a[12:15], v36, s[24:27], 0 offen offset:3072// 000000005B6C: E05C1C00 80860C24
	v_mfma_f32_16x16x32_fp8_fp8 v[68:71], a[140:141], v[252:253], v[68:71]// 000000005B74: D3F30044 0D13F98C
	v_mfma_f32_16x16x32_fp8_fp8 v[68:71], a[142:143], v[254:255], v[68:71]// 000000005B7C: D3F30044 0D13FD8E
	s_waitcnt lgkmcnt(0)                                       // 000000005B84: BF8CC07F
	v_and_b32_e32 v211, 0xffff0000, v209                       // 000000005B88: 27A7A2FF FFFF0000
	v_lshlrev_b32_e32 v210, 16, v209                           // 000000005B90: 25A5A290
	v_and_b32_e32 v209, 0xffff0000, v208                       // 000000005B94: 27A3A0FF FFFF0000
	v_lshlrev_b32_e32 v208, 16, v208                           // 000000005B9C: 25A1A090
	v_and_b32_e32 v215, 0xffff0000, v213                       // 000000005BA0: 27AFAAFF FFFF0000
	v_lshlrev_b32_e32 v214, 16, v213                           // 000000005BA8: 25ADAA90
	v_and_b32_e32 v213, 0xffff0000, v212                       // 000000005BAC: 27ABA8FF FFFF0000
	v_lshlrev_b32_e32 v212, 16, v212                           // 000000005BB4: 25A9A890
	v_and_b32_e32 v219, 0xffff0000, v217                       // 000000005BB8: 27B7B2FF FFFF0000
	v_lshlrev_b32_e32 v218, 16, v217                           // 000000005BC0: 25B5B290
	v_and_b32_e32 v217, 0xffff0000, v216                       // 000000005BC4: 27B3B0FF FFFF0000
	v_lshlrev_b32_e32 v216, 16, v216                           // 000000005BCC: 25B1B090
	v_and_b32_e32 v223, 0xffff0000, v221                       // 000000005BD0: 27BFBAFF FFFF0000
	v_lshlrev_b32_e32 v222, 16, v221                           // 000000005BD8: 25BDBA90
	v_and_b32_e32 v221, 0xffff0000, v220                       // 000000005BDC: 27BBB8FF FFFF0000
	v_lshlrev_b32_e32 v220, 16, v220                           // 000000005BE4: 25B9B890
	v_mul_f32_dpp v208, v14, v208 row_newbcast:8 row_mask:0xf bank_mask:0xf// 000000005BE8: 0BA1A0FA FF01580E
	v_mul_f32_dpp v209, v14, v209 row_newbcast:9 row_mask:0xf bank_mask:0xf// 000000005BF0: 0BA3A2FA FF01590E
	v_mul_f32_dpp v210, v14, v210 row_newbcast:10 row_mask:0xf bank_mask:0xf// 000000005BF8: 0BA5A4FA FF015A0E
	v_mul_f32_dpp v211, v14, v211 row_newbcast:11 row_mask:0xf bank_mask:0xf// 000000005C00: 0BA7A6FA FF015B0E
	v_mul_f32_dpp v212, v14, v212 row_newbcast:8 row_mask:0xf bank_mask:0xf// 000000005C08: 0BA9A8FA FF01580E
	v_mul_f32_dpp v213, v14, v213 row_newbcast:9 row_mask:0xf bank_mask:0xf// 000000005C10: 0BABAAFA FF01590E
	v_mul_f32_dpp v214, v14, v214 row_newbcast:10 row_mask:0xf bank_mask:0xf// 000000005C18: 0BADACFA FF015A0E
	v_mul_f32_dpp v215, v14, v215 row_newbcast:11 row_mask:0xf bank_mask:0xf// 000000005C20: 0BAFAEFA FF015B0E
	v_mul_f32_dpp v216, v14, v216 row_newbcast:12 row_mask:0xf bank_mask:0xf// 000000005C28: 0BB1B0FA FF015C0E
	v_mul_f32_dpp v217, v14, v217 row_newbcast:13 row_mask:0xf bank_mask:0xf// 000000005C30: 0BB3B2FA FF015D0E
	v_mul_f32_dpp v218, v14, v218 row_newbcast:14 row_mask:0xf bank_mask:0xf// 000000005C38: 0BB5B4FA FF015E0E
	v_mul_f32_dpp v219, v14, v219 row_newbcast:15 row_mask:0xf bank_mask:0xf// 000000005C40: 0BB7B6FA FF015F0E
	v_mul_f32_dpp v220, v14, v220 row_newbcast:12 row_mask:0xf bank_mask:0xf// 000000005C48: 0BB9B8FA FF015C0E
	v_mul_f32_dpp v221, v14, v221 row_newbcast:13 row_mask:0xf bank_mask:0xf// 000000005C50: 0BBBBAFA FF015D0E
	v_mul_f32_dpp v222, v14, v222 row_newbcast:14 row_mask:0xf bank_mask:0xf// 000000005C58: 0BBDBCFA FF015E0E
	v_mul_f32_dpp v223, v14, v223 row_newbcast:15 row_mask:0xf bank_mask:0xf// 000000005C60: 0BBFBEFA FF015F0E
	v_mfma_f32_16x16x32_fp8_fp8 v[72:75], a[144:145], v[224:225], v[72:75]// 000000005C68: D3F30048 0D23C190
	v_mfma_f32_16x16x32_fp8_fp8 v[72:75], a[146:147], v[226:227], v[72:75]// 000000005C70: D3F30048 0D23C592
	buffer_load_dwordx4 a[16:19], v37, s[24:27], 0 offen       // 000000005C78: E05C1000 80861025
	v_mfma_f32_16x16x32_fp8_fp8 v[72:75], a[148:149], v[228:229], v[72:75]// 000000005C80: D3F30048 0D23C994
	v_mfma_f32_16x16x32_fp8_fp8 v[72:75], a[150:151], v[230:231], v[72:75]// 000000005C88: D3F30048 0D23CD96
	v_mfma_f32_16x16x32_fp8_fp8 v[72:75], a[152:153], v[232:233], v[72:75]// 000000005C90: D3F30048 0D23D198
	v_mfma_f32_16x16x32_fp8_fp8 v[72:75], a[154:155], v[234:235], v[72:75]// 000000005C98: D3F30048 0D23D59A
	buffer_load_dwordx4 a[20:23], v37, s[24:27], 0 offen offset:1024// 000000005CA0: E05C1400 80861425
	v_mfma_f32_16x16x32_fp8_fp8 v[72:75], a[156:157], v[236:237], v[72:75]// 000000005CA8: D3F30048 0D23D99C
	v_mfma_f32_16x16x32_fp8_fp8 v[72:75], a[158:159], v[238:239], v[72:75]// 000000005CB0: D3F30048 0D23DD9E
	v_mov_b32_e32 v48, 0x358637bd                              // 000000005CB8: 7E6002FF 358637BD
	v_mov_b32_e32 v49, 0x358637bd                              // 000000005CC0: 7E6202FF 358637BD
	v_max3_f32 v48, |v192|, |v193|, v48                        // 000000005CC8: D1D30330 04C383C0
	v_max3_f32 v48, |v194|, |v195|, v48                        // 000000005CD0: D1D30330 04C387C2
	v_max3_f32 v49, |v196|, |v197|, v49                        // 000000005CD8: D1D30331 04C78BC4
	v_max3_f32 v49, |v198|, |v199|, v49                        // 000000005CE0: D1D30331 04C78FC6
	v_max3_f32 v48, |v200|, |v201|, v48                        // 000000005CE8: D1D30330 04C393C8
	v_max3_f32 v48, |v202|, |v203|, v48                        // 000000005CF0: D1D30330 04C397CA
	v_max3_f32 v49, |v204|, |v205|, v49                        // 000000005CF8: D1D30331 04C79BCC
	v_max3_f32 v49, |v206|, |v207|, v49                        // 000000005D00: D1D30331 04C79FCE
	v_max3_f32 v48, |v208|, |v209|, v48                        // 000000005D08: D1D30330 04C3A3D0
	v_max3_f32 v48, |v210|, |v211|, v48                        // 000000005D10: D1D30330 04C3A7D2
	v_max3_f32 v49, |v212|, |v213|, v49                        // 000000005D18: D1D30331 04C7ABD4
	v_max3_f32 v49, |v214|, |v215|, v49                        // 000000005D20: D1D30331 04C7AFD6
	v_max3_f32 v48, |v216|, |v217|, v48                        // 000000005D28: D1D30330 04C3B3D8
	v_max3_f32 v48, |v218|, |v219|, v48                        // 000000005D30: D1D30330 04C3B7DA
	v_max3_f32 v49, |v220|, |v221|, v49                        // 000000005D38: D1D30331 04C7BBDC
	v_max3_f32 v49, |v222|, |v223|, v49                        // 000000005D40: D1D30331 04C7BFDE
	v_mfma_f32_16x16x32_fp8_fp8 v[76:79], a[144:145], v[240:241], v[76:79]// 000000005D48: D3F3004C 0D33E190
	ds_write_b64 v3, v[48:49]                                  // 000000005D50: D89A0000 00003003
	v_mfma_f32_16x16x32_fp8_fp8 v[76:79], a[146:147], v[242:243], v[76:79]// 000000005D58: D3F3004C 0D33E592
	buffer_load_dwordx4 a[24:27], v37, s[24:27], 0 offen offset:2048// 000000005D60: E05C1800 80861825
	v_mfma_f32_16x16x32_fp8_fp8 v[76:79], a[148:149], v[244:245], v[76:79]// 000000005D68: D3F3004C 0D33E994
	v_mfma_f32_16x16x32_fp8_fp8 v[76:79], a[150:151], v[246:247], v[76:79]// 000000005D70: D3F3004C 0D33ED96
	v_mfma_f32_16x16x32_fp8_fp8 v[76:79], a[152:153], v[248:249], v[76:79]// 000000005D78: D3F3004C 0D33F198
	v_mfma_f32_16x16x32_fp8_fp8 v[76:79], a[154:155], v[250:251], v[76:79]// 000000005D80: D3F3004C 0D33F59A
	buffer_load_dwordx4 a[28:31], v37, s[24:27], 0 offen offset:3072// 000000005D88: E05C1C00 80861C25
	v_mfma_f32_16x16x32_fp8_fp8 v[76:79], a[156:157], v[252:253], v[76:79]// 000000005D90: D3F3004C 0D33F99C
	v_mfma_f32_16x16x32_fp8_fp8 v[76:79], a[158:159], v[254:255], v[76:79]// 000000005D98: D3F3004C 0D33FD9E
	s_waitcnt lgkmcnt(0)                                       // 000000005DA0: BF8CC07F
	s_barrier                                                  // 000000005DA4: BF8A0000
	s_waitcnt vmcnt(28)                                        // 000000005DA8: BF8C4F7C
	v_mfma_f32_16x16x32_fp8_fp8 v[80:83], a[160:161], v[224:225], v[80:83]// 000000005DAC: D3F30050 0D43C1A0
	ds_read_b64 v[48:49], v4                                   // 000000005DB4: D8EC0000 30000004
	ds_read_b64 v[50:51], v4 offset:128                        // 000000005DBC: D8EC0080 32000004
	v_mfma_f32_16x16x32_fp8_fp8 v[80:83], a[162:163], v[226:227], v[80:83]// 000000005DC4: D3F30050 0D43C5A2
	buffer_load_dwordx4 a[32:35], v38, s[24:27], 0 offen       // 000000005DCC: E05C1000 80862026
	v_mfma_f32_16x16x32_fp8_fp8 v[80:83], a[164:165], v[228:229], v[80:83]// 000000005DD4: D3F30050 0D43C9A4
	ds_read_b64 v[52:53], v4 offset:256                        // 000000005DDC: D8EC0100 34000004
	ds_read_b64 v[54:55], v4 offset:384                        // 000000005DE4: D8EC0180 36000004
	v_mfma_f32_16x16x32_fp8_fp8 v[80:83], a[166:167], v[230:231], v[80:83]// 000000005DEC: D3F30050 0D43CDA6
	v_mfma_f32_16x16x32_fp8_fp8 v[80:83], a[168:169], v[232:233], v[80:83]// 000000005DF4: D3F30050 0D43D1A8
	ds_read_b64 v[56:57], v4 offset:512                        // 000000005DFC: D8EC0200 38000004
	ds_read_b64 v[58:59], v4 offset:640                        // 000000005E04: D8EC0280 3A000004
	v_mfma_f32_16x16x32_fp8_fp8 v[80:83], a[170:171], v[234:235], v[80:83]// 000000005E0C: D3F30050 0D43D5AA
	buffer_load_dwordx4 a[36:39], v38, s[24:27], 0 offen offset:1024// 000000005E14: E05C1400 80862426
	v_mfma_f32_16x16x32_fp8_fp8 v[80:83], a[172:173], v[236:237], v[80:83]// 000000005E1C: D3F30050 0D43D9AC
	ds_read_b64 v[60:61], v4 offset:768                        // 000000005E24: D8EC0300 3C000004
	ds_read_b64 v[62:63], v4 offset:896                        // 000000005E2C: D8EC0380 3E000004
	v_mfma_f32_16x16x32_fp8_fp8 v[80:83], a[174:175], v[238:239], v[80:83]// 000000005E34: D3F30050 0D43DDAE
	s_waitcnt lgkmcnt(0)                                       // 000000005E3C: BF8CC07F
	v_mov_b32_e32 v22, 0x358637bd                              // 000000005E40: 7E2C02FF 358637BD
	v_mov_b32_e32 v23, 0x358637bd                              // 000000005E48: 7E2E02FF 358637BD
	v_max3_f32 v22, |v48|, |v50|, v22                          // 000000005E50: D1D30316 045A6530
	v_max3_f32 v23, |v49|, |v51|, v23                          // 000000005E58: D1D30317 045E6731
	v_max3_f32 v22, |v52|, |v54|, v22                          // 000000005E60: D1D30316 045A6D34
	v_max3_f32 v23, |v53|, |v55|, v23                          // 000000005E68: D1D30317 045E6F35
	v_max3_f32 v22, |v56|, |v58|, v22                          // 000000005E70: D1D30316 045A7538
	v_max3_f32 v23, |v57|, |v59|, v23                          // 000000005E78: D1D30317 045E7739
	v_max3_f32 v22, |v60|, |v62|, v22                          // 000000005E80: D1D30316 045A7D3C
	v_max3_f32 v23, |v61|, |v63|, v23                          // 000000005E88: D1D30317 045E7F3D
	v_mfma_f32_16x16x32_fp8_fp8 v[84:87], a[160:161], v[240:241], v[84:87]// 000000005E90: D3F30054 0D53E1A0
	ds_read_b64 v[48:49], v4 offset:1024                       // 000000005E98: D8EC0400 30000004
	ds_read_b64 v[50:51], v4 offset:1152                       // 000000005EA0: D8EC0480 32000004
	v_mfma_f32_16x16x32_fp8_fp8 v[84:87], a[162:163], v[242:243], v[84:87]// 000000005EA8: D3F30054 0D53E5A2
	buffer_load_dwordx4 a[40:43], v38, s[24:27], 0 offen offset:2048// 000000005EB0: E05C1800 80862826
	v_mfma_f32_16x16x32_fp8_fp8 v[84:87], a[164:165], v[244:245], v[84:87]// 000000005EB8: D3F30054 0D53E9A4
	ds_read_b64 v[52:53], v4 offset:1280                       // 000000005EC0: D8EC0500 34000004
	ds_read_b64 v[54:55], v4 offset:1408                       // 000000005EC8: D8EC0580 36000004
	v_mfma_f32_16x16x32_fp8_fp8 v[84:87], a[166:167], v[246:247], v[84:87]// 000000005ED0: D3F30054 0D53EDA6
	v_mfma_f32_16x16x32_fp8_fp8 v[84:87], a[168:169], v[248:249], v[84:87]// 000000005ED8: D3F30054 0D53F1A8
	ds_read_b64 v[56:57], v4 offset:1536                       // 000000005EE0: D8EC0600 38000004
	ds_read_b64 v[58:59], v4 offset:1664                       // 000000005EE8: D8EC0680 3A000004
	v_mfma_f32_16x16x32_fp8_fp8 v[84:87], a[170:171], v[250:251], v[84:87]// 000000005EF0: D3F30054 0D53F5AA
	buffer_load_dwordx4 a[44:47], v38, s[24:27], 0 offen offset:3072// 000000005EF8: E05C1C00 80862C26
	v_mfma_f32_16x16x32_fp8_fp8 v[84:87], a[172:173], v[252:253], v[84:87]// 000000005F00: D3F30054 0D53F9AC
	ds_read_b64 v[60:61], v4 offset:1792                       // 000000005F08: D8EC0700 3C000004
	ds_read_b64 v[62:63], v4 offset:1920                       // 000000005F10: D8EC0780 3E000004
	v_mfma_f32_16x16x32_fp8_fp8 v[84:87], a[174:175], v[254:255], v[84:87]// 000000005F18: D3F30054 0D53FDAE
	s_waitcnt vmcnt(28)                                        // 000000005F20: BF8C4F7C
	v_mfma_f32_16x16x32_fp8_fp8 v[88:91], a[176:177], v[224:225], v[88:91]// 000000005F24: D3F30058 0D63C1B0
	v_mfma_f32_16x16x32_fp8_fp8 v[88:91], a[178:179], v[226:227], v[88:91]// 000000005F2C: D3F30058 0D63C5B2
	buffer_load_dwordx4 a[48:51], v39, s[24:27], 0 offen       // 000000005F34: E05C1000 80863027
	v_mfma_f32_16x16x32_fp8_fp8 v[88:91], a[180:181], v[228:229], v[88:91]// 000000005F3C: D3F30058 0D63C9B4
	v_mfma_f32_16x16x32_fp8_fp8 v[88:91], a[182:183], v[230:231], v[88:91]// 000000005F44: D3F30058 0D63CDB6
	v_mfma_f32_16x16x32_fp8_fp8 v[88:91], a[184:185], v[232:233], v[88:91]// 000000005F4C: D3F30058 0D63D1B8
	v_mfma_f32_16x16x32_fp8_fp8 v[88:91], a[186:187], v[234:235], v[88:91]// 000000005F54: D3F30058 0D63D5BA
	buffer_load_dwordx4 a[52:55], v39, s[24:27], 0 offen offset:1024// 000000005F5C: E05C1400 80863427
	v_mfma_f32_16x16x32_fp8_fp8 v[88:91], a[188:189], v[236:237], v[88:91]// 000000005F64: D3F30058 0D63D9BC
	v_mfma_f32_16x16x32_fp8_fp8 v[88:91], a[190:191], v[238:239], v[88:91]// 000000005F6C: D3F30058 0D63DDBE
	s_waitcnt lgkmcnt(0)                                       // 000000005F74: BF8CC07F
	v_max3_f32 v22, |v48|, |v50|, v22                          // 000000005F78: D1D30316 045A6530
	v_max3_f32 v23, |v49|, |v51|, v23                          // 000000005F80: D1D30317 045E6731
	v_max3_f32 v22, |v52|, |v54|, v22                          // 000000005F88: D1D30316 045A6D34
	v_max3_f32 v23, |v53|, |v55|, v23                          // 000000005F90: D1D30317 045E6F35
	v_max3_f32 v22, |v56|, |v58|, v22                          // 000000005F98: D1D30316 045A7538
	v_max3_f32 v23, |v57|, |v59|, v23                          // 000000005FA0: D1D30317 045E7739
	v_max3_f32 v22, |v60|, |v62|, v22                          // 000000005FA8: D1D30316 045A7D3C
	v_max3_f32 v23, |v61|, |v63|, v23                          // 000000005FB0: D1D30317 045E7F3D
	v_mov_b32_e32 v44, 0x43700000                              // 000000005FB8: 7E5802FF 43700000
	v_rcp_f32_e32 v22, v22                                     // 000000005FC0: 7E2C4516
	v_rcp_f32_e32 v23, v23                                     // 000000005FC4: 7E2E4517
	s_nop 1                                                    // 000000005FC8: BF800001
	v_mul_f32_e32 v22, v44, v22                                // 000000005FCC: 0A2C2D2C
	v_mul_f32_e32 v23, v44, v23                                // 000000005FD0: 0A2E2F2C
	v_rcp_f32_e32 v24, v22                                     // 000000005FD4: 7E304516
	v_rcp_f32_e32 v25, v23                                     // 000000005FD8: 7E324517
	v_mov_b32_e32 v44, v22                                     // 000000005FDC: 7E580316
	v_mov_b32_e32 v45, v22                                     // 000000005FE0: 7E5A0316
	v_mov_b32_e32 v46, v23                                     // 000000005FE4: 7E5C0317
	v_mov_b32_e32 v47, v23                                     // 000000005FE8: 7E5E0317
	v_mfma_f32_16x16x32_fp8_fp8 v[92:95], a[176:177], v[240:241], v[92:95]// 000000005FEC: D3F3005C 0D73E1B0
	v_mfma_f32_16x16x32_fp8_fp8 v[92:95], a[178:179], v[242:243], v[92:95]// 000000005FF4: D3F3005C 0D73E5B2
	buffer_load_dwordx4 a[56:59], v39, s[24:27], 0 offen offset:2048// 000000005FFC: E05C1800 80863827
	v_mfma_f32_16x16x32_fp8_fp8 v[92:95], a[180:181], v[244:245], v[92:95]// 000000006004: D3F3005C 0D73E9B4
	v_mfma_f32_16x16x32_fp8_fp8 v[92:95], a[182:183], v[246:247], v[92:95]// 00000000600C: D3F3005C 0D73EDB6
	v_mfma_f32_16x16x32_fp8_fp8 v[92:95], a[184:185], v[248:249], v[92:95]// 000000006014: D3F3005C 0D73F1B8
	v_mfma_f32_16x16x32_fp8_fp8 v[92:95], a[186:187], v[250:251], v[92:95]// 00000000601C: D3F3005C 0D73F5BA
	buffer_load_dwordx4 a[60:63], v39, s[24:27], 0 offen offset:3072// 000000006024: E05C1C00 80863C27
	v_mfma_f32_16x16x32_fp8_fp8 v[92:95], a[188:189], v[252:253], v[92:95]// 00000000602C: D3F3005C 0D73F9BC
	v_mfma_f32_16x16x32_fp8_fp8 v[92:95], a[190:191], v[254:255], v[92:95]// 000000006034: D3F3005C 0D73FDBE
	v_pk_mul_f32 v[192:193], v[44:45], v[192:193]              // 00000000603C: D3B140C0 1803812C
	v_pk_mul_f32 v[194:195], v[44:45], v[194:195]              // 000000006044: D3B140C2 1803852C
	v_cvt_pk_fp8_f32 v192, v192, v193                          // 00000000604C: D2A200C0 000383C0
	v_cvt_pk_fp8_f32 v192, v194, v195 op_sel:[0,0,1]           // 000000006054: D2A240C0 000387C2
	v_pk_mul_f32 v[196:197], v[46:47], v[196:197]              // 00000000605C: D3B140C4 1803892E
	v_pk_mul_f32 v[198:199], v[46:47], v[198:199]              // 000000006064: D3B140C6 18038D2E
	v_cvt_pk_fp8_f32 v193, v196, v197                          // 00000000606C: D2A200C1 00038BC4
	v_cvt_pk_fp8_f32 v193, v198, v199 op_sel:[0,0,1]           // 000000006074: D2A240C1 00038FC6
	s_waitcnt vmcnt(28)                                        // 00000000607C: BF8C4F7C
	v_mfma_f32_16x16x32_fp8_fp8 v[96:99], a[192:193], v[224:225], v[96:99]// 000000006080: D3F30060 0D83C1C0
	v_mfma_f32_16x16x32_fp8_fp8 v[96:99], a[194:195], v[226:227], v[96:99]// 000000006088: D3F30060 0D83C5C2
	buffer_load_dwordx4 a[64:67], v40, s[24:27], 0 offen       // 000000006090: E05C1000 80864028
	v_mfma_f32_16x16x32_fp8_fp8 v[96:99], a[196:197], v[228:229], v[96:99]// 000000006098: D3F30060 0D83C9C4
	v_mfma_f32_16x16x32_fp8_fp8 v[96:99], a[198:199], v[230:231], v[96:99]// 0000000060A0: D3F30060 0D83CDC6
	v_mfma_f32_16x16x32_fp8_fp8 v[96:99], a[200:201], v[232:233], v[96:99]// 0000000060A8: D3F30060 0D83D1C8
	v_mfma_f32_16x16x32_fp8_fp8 v[96:99], a[202:203], v[234:235], v[96:99]// 0000000060B0: D3F30060 0D83D5CA
	buffer_load_dwordx4 a[68:71], v40, s[24:27], 0 offen offset:1024// 0000000060B8: E05C1400 80864428
	v_mfma_f32_16x16x32_fp8_fp8 v[96:99], a[204:205], v[236:237], v[96:99]// 0000000060C0: D3F30060 0D83D9CC
	v_mfma_f32_16x16x32_fp8_fp8 v[96:99], a[206:207], v[238:239], v[96:99]// 0000000060C8: D3F30060 0D83DDCE
	v_pk_mul_f32 v[200:201], v[44:45], v[200:201]              // 0000000060D0: D3B140C8 1803912C
	v_pk_mul_f32 v[202:203], v[44:45], v[202:203]              // 0000000060D8: D3B140CA 1803952C
	v_cvt_pk_fp8_f32 v194, v200, v201                          // 0000000060E0: D2A200C2 000393C8
	v_cvt_pk_fp8_f32 v194, v202, v203 op_sel:[0,0,1]           // 0000000060E8: D2A240C2 000397CA
	v_pk_mul_f32 v[204:205], v[46:47], v[204:205]              // 0000000060F0: D3B140CC 1803992E
	v_pk_mul_f32 v[206:207], v[46:47], v[206:207]              // 0000000060F8: D3B140CE 18039D2E
	v_cvt_pk_fp8_f32 v195, v204, v205                          // 000000006100: D2A200C3 00039BCC
	v_cvt_pk_fp8_f32 v195, v206, v207 op_sel:[0,0,1]           // 000000006108: D2A240C3 00039FCE
	v_mfma_f32_16x16x32_fp8_fp8 v[100:103], a[192:193], v[240:241], v[100:103]// 000000006110: D3F30064 0D93E1C0
	ds_write_b32 v12, v192 offset:2048                         // 000000006118: D81A0800 0000C00C
	v_mfma_f32_16x16x32_fp8_fp8 v[100:103], a[194:195], v[242:243], v[100:103]// 000000006120: D3F30064 0D93E5C2
	buffer_load_dwordx4 a[72:75], v40, s[24:27], 0 offen offset:2048// 000000006128: E05C1800 80864828
	v_mfma_f32_16x16x32_fp8_fp8 v[100:103], a[196:197], v[244:245], v[100:103]// 000000006130: D3F30064 0D93E9C4
	ds_write_b32 v12, v193 offset:6144                         // 000000006138: D81A1800 0000C10C
	v_mfma_f32_16x16x32_fp8_fp8 v[100:103], a[198:199], v[246:247], v[100:103]// 000000006140: D3F30064 0D93EDC6
	v_mfma_f32_16x16x32_fp8_fp8 v[100:103], a[200:201], v[248:249], v[100:103]// 000000006148: D3F30064 0D93F1C8
	ds_write_b32 v12, v194 offset:3072                         // 000000006150: D81A0C00 0000C20C
	v_mfma_f32_16x16x32_fp8_fp8 v[100:103], a[202:203], v[250:251], v[100:103]// 000000006158: D3F30064 0D93F5CA
	buffer_load_dwordx4 a[76:79], v40, s[24:27], 0 offen offset:3072// 000000006160: E05C1C00 80864C28
	v_mfma_f32_16x16x32_fp8_fp8 v[100:103], a[204:205], v[252:253], v[100:103]// 000000006168: D3F30064 0D93F9CC
	ds_write_b32 v12, v195 offset:7168                         // 000000006170: D81A1C00 0000C30C
	v_mfma_f32_16x16x32_fp8_fp8 v[100:103], a[206:207], v[254:255], v[100:103]// 000000006178: D3F30064 0D93FDCE
	v_pk_mul_f32 v[208:209], v[44:45], v[208:209]              // 000000006180: D3B140D0 1803A12C
	v_pk_mul_f32 v[210:211], v[44:45], v[210:211]              // 000000006188: D3B140D2 1803A52C
	v_cvt_pk_fp8_f32 v196, v208, v209                          // 000000006190: D2A200C4 0003A3D0
	v_cvt_pk_fp8_f32 v196, v210, v211 op_sel:[0,0,1]           // 000000006198: D2A240C4 0003A7D2
	v_pk_mul_f32 v[212:213], v[46:47], v[212:213]              // 0000000061A0: D3B140D4 1803A92E
	v_pk_mul_f32 v[214:215], v[46:47], v[214:215]              // 0000000061A8: D3B140D6 1803AD2E
	v_cvt_pk_fp8_f32 v197, v212, v213                          // 0000000061B0: D2A200C5 0003ABD4
	v_cvt_pk_fp8_f32 v197, v214, v215 op_sel:[0,0,1]           // 0000000061B8: D2A240C5 0003AFD6
	s_waitcnt vmcnt(28)                                        // 0000000061C0: BF8C4F7C
	v_mfma_f32_16x16x32_fp8_fp8 v[104:107], a[208:209], v[224:225], v[104:107]// 0000000061C4: D3F30068 0DA3C1D0
	v_mfma_f32_16x16x32_fp8_fp8 v[104:107], a[210:211], v[226:227], v[104:107]// 0000000061CC: D3F30068 0DA3C5D2
	buffer_load_dwordx4 a[80:83], v41, s[24:27], 0 offen       // 0000000061D4: E05C1000 80865029
	v_mfma_f32_16x16x32_fp8_fp8 v[104:107], a[212:213], v[228:229], v[104:107]// 0000000061DC: D3F30068 0DA3C9D4
	v_mfma_f32_16x16x32_fp8_fp8 v[104:107], a[214:215], v[230:231], v[104:107]// 0000000061E4: D3F30068 0DA3CDD6
	v_mfma_f32_16x16x32_fp8_fp8 v[104:107], a[216:217], v[232:233], v[104:107]// 0000000061EC: D3F30068 0DA3D1D8
	v_mfma_f32_16x16x32_fp8_fp8 v[104:107], a[218:219], v[234:235], v[104:107]// 0000000061F4: D3F30068 0DA3D5DA
	buffer_load_dwordx4 a[84:87], v41, s[24:27], 0 offen offset:1024// 0000000061FC: E05C1400 80865429
	v_mfma_f32_16x16x32_fp8_fp8 v[104:107], a[220:221], v[236:237], v[104:107]// 000000006204: D3F30068 0DA3D9DC
	v_mfma_f32_16x16x32_fp8_fp8 v[104:107], a[222:223], v[238:239], v[104:107]// 00000000620C: D3F30068 0DA3DDDE
	v_pk_mul_f32 v[216:217], v[44:45], v[216:217]              // 000000006214: D3B140D8 1803B12C
	v_pk_mul_f32 v[218:219], v[44:45], v[218:219]              // 00000000621C: D3B140DA 1803B52C
	v_cvt_pk_fp8_f32 v198, v216, v217                          // 000000006224: D2A200C6 0003B3D8
	v_cvt_pk_fp8_f32 v198, v218, v219 op_sel:[0,0,1]           // 00000000622C: D2A240C6 0003B7DA
	v_pk_mul_f32 v[220:221], v[46:47], v[220:221]              // 000000006234: D3B140DC 1803B92E
	v_pk_mul_f32 v[222:223], v[46:47], v[222:223]              // 00000000623C: D3B140DE 1803BD2E
	v_cvt_pk_fp8_f32 v199, v220, v221                          // 000000006244: D2A200C7 0003BBDC
	v_cvt_pk_fp8_f32 v199, v222, v223 op_sel:[0,0,1]           // 00000000624C: D2A240C7 0003BFDE
	v_mfma_f32_16x16x32_fp8_fp8 v[108:111], a[208:209], v[240:241], v[108:111]// 000000006254: D3F3006C 0DB3E1D0
	ds_write_b32 v12, v196 offset:4096                         // 00000000625C: D81A1000 0000C40C
	v_mfma_f32_16x16x32_fp8_fp8 v[108:111], a[210:211], v[242:243], v[108:111]// 000000006264: D3F3006C 0DB3E5D2
	buffer_load_dwordx4 a[88:91], v41, s[24:27], 0 offen offset:2048// 00000000626C: E05C1800 80865829
	v_mfma_f32_16x16x32_fp8_fp8 v[108:111], a[212:213], v[244:245], v[108:111]// 000000006274: D3F3006C 0DB3E9D4
	ds_write_b32 v12, v197 offset:8192                         // 00000000627C: D81A2000 0000C50C
	v_mfma_f32_16x16x32_fp8_fp8 v[108:111], a[214:215], v[246:247], v[108:111]// 000000006284: D3F3006C 0DB3EDD6
	v_mfma_f32_16x16x32_fp8_fp8 v[108:111], a[216:217], v[248:249], v[108:111]// 00000000628C: D3F3006C 0DB3F1D8
	ds_write_b32 v12, v198 offset:5120                         // 000000006294: D81A1400 0000C60C
	v_mfma_f32_16x16x32_fp8_fp8 v[108:111], a[218:219], v[250:251], v[108:111]// 00000000629C: D3F3006C 0DB3F5DA
	buffer_load_dwordx4 a[92:95], v41, s[24:27], 0 offen offset:3072// 0000000062A4: E05C1C00 80865C29
	v_mfma_f32_16x16x32_fp8_fp8 v[108:111], a[220:221], v[252:253], v[108:111]// 0000000062AC: D3F3006C 0DB3F9DC
	ds_write_b32 v12, v199 offset:9216                         // 0000000062B4: D81A2400 0000C70C
	v_mfma_f32_16x16x32_fp8_fp8 v[108:111], a[222:223], v[254:255], v[108:111]// 0000000062BC: D3F3006C 0DB3FDDE
	s_waitcnt lgkmcnt(0)                                       // 0000000062C4: BF8CC07F
	s_barrier                                                  // 0000000062C8: BF8A0000
	s_waitcnt vmcnt(28)                                        // 0000000062CC: BF8C4F7C
	v_mfma_f32_16x16x32_fp8_fp8 v[112:115], a[224:225], v[224:225], v[112:115]// 0000000062D0: D3F30070 0DC3C1E0
	ds_read_b64 v[192:193], v13 offset:2048                    // 0000000062D8: D8EC0800 C000000D
	ds_read_b64 v[194:195], v13 offset:2176                    // 0000000062E0: D8EC0880 C200000D
	v_mfma_f32_16x16x32_fp8_fp8 v[112:115], a[226:227], v[226:227], v[112:115]// 0000000062E8: D3F30070 0DC3C5E2
	buffer_load_dwordx4 a[96:99], v42, s[24:27], 0 offen       // 0000000062F0: E05C1000 8086602A
	v_mfma_f32_16x16x32_fp8_fp8 v[112:115], a[228:229], v[228:229], v[112:115]// 0000000062F8: D3F30070 0DC3C9E4
	ds_read_b64 v[196:197], v13 offset:3072                    // 000000006300: D8EC0C00 C400000D
	ds_read_b64 v[198:199], v13 offset:3200                    // 000000006308: D8EC0C80 C600000D
	v_mfma_f32_16x16x32_fp8_fp8 v[112:115], a[230:231], v[230:231], v[112:115]// 000000006310: D3F30070 0DC3CDE6
	v_mfma_f32_16x16x32_fp8_fp8 v[112:115], a[232:233], v[232:233], v[112:115]// 000000006318: D3F30070 0DC3D1E8
	ds_read_b64 v[200:201], v13 offset:4096                    // 000000006320: D8EC1000 C800000D
	ds_read_b64 v[202:203], v13 offset:4224                    // 000000006328: D8EC1080 CA00000D
	v_mfma_f32_16x16x32_fp8_fp8 v[112:115], a[234:235], v[234:235], v[112:115]// 000000006330: D3F30070 0DC3D5EA
	buffer_load_dwordx4 a[100:103], v42, s[24:27], 0 offen offset:1024// 000000006338: E05C1400 8086642A
	v_mfma_f32_16x16x32_fp8_fp8 v[112:115], a[236:237], v[236:237], v[112:115]// 000000006340: D3F30070 0DC3D9EC
	ds_read_b64 v[204:205], v13 offset:5120                    // 000000006348: D8EC1400 CC00000D
	ds_read_b64 v[206:207], v13 offset:5248                    // 000000006350: D8EC1480 CE00000D
	v_mfma_f32_16x16x32_fp8_fp8 v[112:115], a[238:239], v[238:239], v[112:115]// 000000006358: D3F30070 0DC3DDEE
	v_mfma_f32_16x16x32_fp8_fp8 v[116:119], a[224:225], v[240:241], v[116:119]// 000000006360: D3F30074 0DD3E1E0
	ds_read_b64 v[208:209], v13 offset:6144                    // 000000006368: D8EC1800 D000000D
	ds_read_b64 v[210:211], v13 offset:6272                    // 000000006370: D8EC1880 D200000D
	v_mfma_f32_16x16x32_fp8_fp8 v[116:119], a[226:227], v[242:243], v[116:119]// 000000006378: D3F30074 0DD3E5E2
	buffer_load_dwordx4 a[104:107], v42, s[24:27], 0 offen offset:2048// 000000006380: E05C1800 8086682A
	v_mfma_f32_16x16x32_fp8_fp8 v[116:119], a[228:229], v[244:245], v[116:119]// 000000006388: D3F30074 0DD3E9E4
	ds_read_b64 v[212:213], v13 offset:7168                    // 000000006390: D8EC1C00 D400000D
	ds_read_b64 v[214:215], v13 offset:7296                    // 000000006398: D8EC1C80 D600000D
	v_mfma_f32_16x16x32_fp8_fp8 v[116:119], a[230:231], v[246:247], v[116:119]// 0000000063A0: D3F30074 0DD3EDE6
	v_mfma_f32_16x16x32_fp8_fp8 v[116:119], a[232:233], v[248:249], v[116:119]// 0000000063A8: D3F30074 0DD3F1E8
	ds_read_b64 v[216:217], v13 offset:8192                    // 0000000063B0: D8EC2000 D800000D
	ds_read_b64 v[218:219], v13 offset:8320                    // 0000000063B8: D8EC2080 DA00000D
	v_mfma_f32_16x16x32_fp8_fp8 v[116:119], a[234:235], v[250:251], v[116:119]// 0000000063C0: D3F30074 0DD3F5EA
	buffer_load_dwordx4 a[108:111], v42, s[24:27], 0 offen offset:3072// 0000000063C8: E05C1C00 80866C2A
	v_mfma_f32_16x16x32_fp8_fp8 v[116:119], a[236:237], v[252:253], v[116:119]// 0000000063D0: D3F30074 0DD3F9EC
	ds_read_b64 v[220:221], v13 offset:9216                    // 0000000063D8: D8EC2400 DC00000D
	ds_read_b64 v[222:223], v13 offset:9344                    // 0000000063E0: D8EC2480 DE00000D
	v_mfma_f32_16x16x32_fp8_fp8 v[116:119], a[238:239], v[254:255], v[116:119]// 0000000063E8: D3F30074 0DD3FDEE
	s_waitcnt vmcnt(28)                                        // 0000000063F0: BF8C4F7C
	v_mfma_f32_16x16x32_fp8_fp8 v[120:123], a[240:241], v[224:225], v[120:123]// 0000000063F4: D3F30078 0DE3C1F0
	v_mfma_f32_16x16x32_fp8_fp8 v[120:123], a[242:243], v[226:227], v[120:123]// 0000000063FC: D3F30078 0DE3C5F2
	buffer_load_dwordx4 a[112:115], v43, s[24:27], 0 offen     // 000000006404: E05C1000 8086702B
	v_mfma_f32_16x16x32_fp8_fp8 v[120:123], a[244:245], v[228:229], v[120:123]// 00000000640C: D3F30078 0DE3C9F4
	v_mfma_f32_16x16x32_fp8_fp8 v[120:123], a[246:247], v[230:231], v[120:123]// 000000006414: D3F30078 0DE3CDF6
	v_mfma_f32_16x16x32_fp8_fp8 v[120:123], a[248:249], v[232:233], v[120:123]// 00000000641C: D3F30078 0DE3D1F8
	v_mfma_f32_16x16x32_fp8_fp8 v[120:123], a[250:251], v[234:235], v[120:123]// 000000006424: D3F30078 0DE3D5FA
	buffer_load_dwordx4 a[116:119], v43, s[24:27], 0 offen offset:1024// 00000000642C: E05C1400 8086742B
	v_mfma_f32_16x16x32_fp8_fp8 v[120:123], a[252:253], v[236:237], v[120:123]// 000000006434: D3F30078 0DE3D9FC
	v_mfma_f32_16x16x32_fp8_fp8 v[120:123], a[254:255], v[238:239], v[120:123]// 00000000643C: D3F30078 0DE3DDFE
	v_mfma_f32_16x16x32_fp8_fp8 v[124:127], a[240:241], v[240:241], v[124:127]// 000000006444: D3F3007C 0DF3E1F0
	v_mfma_f32_16x16x32_fp8_fp8 v[124:127], a[242:243], v[242:243], v[124:127]// 00000000644C: D3F3007C 0DF3E5F2
	buffer_load_dwordx4 a[120:123], v43, s[24:27], 0 offen offset:2048// 000000006454: E05C1800 8086782B
	v_mfma_f32_16x16x32_fp8_fp8 v[124:127], a[244:245], v[244:245], v[124:127]// 00000000645C: D3F3007C 0DF3E9F4
	v_mfma_f32_16x16x32_fp8_fp8 v[124:127], a[246:247], v[246:247], v[124:127]// 000000006464: D3F3007C 0DF3EDF6
	v_mfma_f32_16x16x32_fp8_fp8 v[124:127], a[248:249], v[248:249], v[124:127]// 00000000646C: D3F3007C 0DF3F1F8
	v_mfma_f32_16x16x32_fp8_fp8 v[124:127], a[250:251], v[250:251], v[124:127]// 000000006474: D3F3007C 0DF3F5FA
	buffer_load_dwordx4 a[124:127], v43, s[24:27], 0 offen offset:3072// 00000000647C: E05C1C00 80867C2B
	v_mfma_f32_16x16x32_fp8_fp8 v[124:127], a[252:253], v[252:253], v[124:127]// 000000006484: D3F3007C 0DF3F9FC
	v_mfma_f32_16x16x32_fp8_fp8 v[124:127], a[254:255], v[254:255], v[124:127]// 00000000648C: D3F3007C 0DF3FDFE
	s_add_u32 s60, 0x200, s80                                  // 000000006494: 803C50FF 00000200
	s_cmp_lt_u32 s60, s81                                      // 00000000649C: BF0A513C
	s_cselect_b32 s57, s57, 0                                  // 0000000064A0: 85398039
	s_cselect_b32 s91, s91, 0                                  // 0000000064A4: 855B805B
	s_add_u32 s60, 0x200, s80                                  // 0000000064A8: 803C50FF 00000200
	s_cmp_lt_u32 s60, s81                                      // 0000000064B0: BF0A513C
	s_cselect_b32 s58, s58, 0                                  // 0000000064B4: 853A803A
	s_add_u32 s20, s57, s20                                    // 0000000064B8: 80141439
	s_addc_u32 s21, 0, s21                                     // 0000000064BC: 82151580
	s_add_u32 s28, s91, s28                                    // 0000000064C0: 801C1C5B
	s_addc_u32 s29, 0, s29                                     // 0000000064C4: 821D1D80
	s_add_u32 s24, s58, s24                                    // 0000000064C8: 8018183A
	s_addc_u32 s25, 0, s25                                     // 0000000064CC: 82191980
	s_add_u32 s92, s90, s92                                    // 0000000064D0: 805C5C5A
	s_addc_u32 s93, 0, s93                                     // 0000000064D4: 825D5D80
	v_mov_b32_e32 v44, v26                                     // 0000000064D8: 7E58031A
	v_mov_b32_e32 v46, v27                                     // 0000000064DC: 7E5C031B
	v_mov_b32_e32 v45, v44                                     // 0000000064E0: 7E5A032C
	v_mov_b32_e32 v47, v46                                     // 0000000064E4: 7E5E032E
	v_pk_mul_f32 v[64:65], v[44:45], v[64:65]                  // 0000000064E8: D3B14040 1802812C
	v_pk_mul_f32 v[66:67], v[44:45], v[66:67]                  // 0000000064F0: D3B14042 1802852C
	v_pk_mul_f32 v[68:69], v[46:47], v[68:69]                  // 0000000064F8: D3B14044 1802892E
	v_pk_mul_f32 v[70:71], v[46:47], v[70:71]                  // 000000006500: D3B14046 18028D2E
	v_pk_mul_f32 v[72:73], v[44:45], v[72:73]                  // 000000006508: D3B14048 1802912C
	v_pk_mul_f32 v[74:75], v[44:45], v[74:75]                  // 000000006510: D3B1404A 1802952C
	v_pk_mul_f32 v[76:77], v[46:47], v[76:77]                  // 000000006518: D3B1404C 1802992E
	v_pk_mul_f32 v[78:79], v[46:47], v[78:79]                  // 000000006520: D3B1404E 18029D2E
	v_pk_mul_f32 v[80:81], v[44:45], v[80:81]                  // 000000006528: D3B14050 1802A12C
	v_pk_mul_f32 v[82:83], v[44:45], v[82:83]                  // 000000006530: D3B14052 1802A52C
	v_pk_mul_f32 v[84:85], v[46:47], v[84:85]                  // 000000006538: D3B14054 1802A92E
	v_pk_mul_f32 v[86:87], v[46:47], v[86:87]                  // 000000006540: D3B14056 1802AD2E
	v_pk_mul_f32 v[88:89], v[44:45], v[88:89]                  // 000000006548: D3B14058 1802B12C
	v_pk_mul_f32 v[90:91], v[44:45], v[90:91]                  // 000000006550: D3B1405A 1802B52C
	v_pk_mul_f32 v[92:93], v[46:47], v[92:93]                  // 000000006558: D3B1405C 1802B92E
	v_pk_mul_f32 v[94:95], v[46:47], v[94:95]                  // 000000006560: D3B1405E 1802BD2E
	v_pk_mul_f32 v[96:97], v[44:45], v[96:97]                  // 000000006568: D3B14060 1802C12C
	v_pk_mul_f32 v[98:99], v[44:45], v[98:99]                  // 000000006570: D3B14062 1802C52C
	v_pk_mul_f32 v[100:101], v[46:47], v[100:101]              // 000000006578: D3B14064 1802C92E
	v_pk_mul_f32 v[102:103], v[46:47], v[102:103]              // 000000006580: D3B14066 1802CD2E
	v_pk_mul_f32 v[104:105], v[44:45], v[104:105]              // 000000006588: D3B14068 1802D12C
	v_pk_mul_f32 v[106:107], v[44:45], v[106:107]              // 000000006590: D3B1406A 1802D52C
	v_pk_mul_f32 v[108:109], v[46:47], v[108:109]              // 000000006598: D3B1406C 1802D92E
	v_pk_mul_f32 v[110:111], v[46:47], v[110:111]              // 0000000065A0: D3B1406E 1802DD2E
	v_pk_mul_f32 v[112:113], v[44:45], v[112:113]              // 0000000065A8: D3B14070 1802E12C
	v_pk_mul_f32 v[114:115], v[44:45], v[114:115]              // 0000000065B0: D3B14072 1802E52C
	v_pk_mul_f32 v[116:117], v[46:47], v[116:117]              // 0000000065B8: D3B14074 1802E92E
	v_pk_mul_f32 v[118:119], v[46:47], v[118:119]              // 0000000065C0: D3B14076 1802ED2E
	v_pk_mul_f32 v[120:121], v[44:45], v[120:121]              // 0000000065C8: D3B14078 1802F12C
	v_pk_mul_f32 v[122:123], v[44:45], v[122:123]              // 0000000065D0: D3B1407A 1802F52C
	v_pk_mul_f32 v[124:125], v[46:47], v[124:125]              // 0000000065D8: D3B1407C 1802F92E
	v_pk_mul_f32 v[126:127], v[46:47], v[126:127]              // 0000000065E0: D3B1407E 1802FD2E
	s_addk_i32 s80, 0x100                                      // 0000000065E8: B7500100
	s_cmp_lt_i32 s80, s81                                      // 0000000065EC: BF045150
	s_cbranch_scc0 label_0EBE                                  // 0000000065F0: BF840001
	s_branch label_0415                                        // 0000000065F4: BF82F557

00000000000065f8 <label_0EBE>:
	s_mov_b32 s36, -1                                          // 0000000065F8: BEA400C1
	s_mov_b32 s37, -1                                          // 0000000065FC: BEA500C1
	s_mov_b64 s[60:61], 0                                      // 000000006600: BEBC0180
	s_cmp_lt_u32 s82, s66                                      // 000000006604: BF0A4252
	s_cselect_b64 s[20:21], s[36:37], s[60:61]                 // 000000006608: 85943C24
	s_cmp_lt_u32 s83, s66                                      // 00000000660C: BF0A4253
	s_cselect_b64 s[22:23], s[36:37], s[60:61]                 // 000000006610: 85963C24
	s_cmp_lt_u32 s84, s66                                      // 000000006614: BF0A4254
	s_cselect_b64 s[24:25], s[36:37], s[60:61]                 // 000000006618: 85983C24
	s_cmp_lt_u32 s85, s66                                      // 00000000661C: BF0A4255
	s_cselect_b64 s[26:27], s[36:37], s[60:61]                 // 000000006620: 859A3C24
	s_cmp_lt_u32 s86, s66                                      // 000000006624: BF0A4256
	s_cselect_b64 s[28:29], s[36:37], s[60:61]                 // 000000006628: 859C3C24
	s_cmp_lt_u32 s87, s66                                      // 00000000662C: BF0A4257
	s_cselect_b64 s[30:31], s[36:37], s[60:61]                 // 000000006630: 859E3C24
	s_cmp_lt_u32 s88, s66                                      // 000000006634: BF0A4258
	s_cselect_b64 s[32:33], s[36:37], s[60:61]                 // 000000006638: 85A03C24
	s_cmp_lt_u32 s89, s66                                      // 00000000663C: BF0A4259
	s_cselect_b64 s[34:35], s[36:37], s[60:61]                 // 000000006640: 85A23C24
	v_mov_b32_e32 v56, 0xbfcc4231                              // 000000006644: 7E7002FF BFCC4231
	v_mov_b32_e32 v57, 0xbfcc4231                              // 00000000664C: 7E7202FF BFCC4231
	v_mov_b32_e32 v53, 0xffff0000                              // 000000006654: 7E6A02FF FFFF0000
	v_mov_b32_e32 v54, 0x7fff0000                              // 00000000665C: 7E6C02FF 7FFF0000
	v_mov_b32_e32 v55, 0x7fff                                  // 000000006664: 7E6E02FF 00007FFF
	s_mul_i32 s60, s5, 16                                      // 00000000666C: 923C9005
	s_mul_i32 s60, s60, s70                                    // 000000006670: 923C463C
	v_lshlrev_b32_e32 v48, 4, v0                               // 000000006674: 24600084
	v_add_u32_e32 v48, s60, v48                                // 000000006678: 6860603C
	s_mul_i32 s60, 64, s70                                     // 00000000667C: 923C46C0
	v_add_u32_e32 v49, s60, v48                                // 000000006680: 6862603C
	v_add_u32_e32 v50, s60, v49                                // 000000006684: 6864623C
	v_add_u32_e32 v51, s60, v50                                // 000000006688: 6866643C
	v_lshrrev_b32_e32 v44, 4, v0                               // 00000000668C: 20580084
	v_mul_i32_i24_e32 v3, 34, v44                              // 000000006690: 0C0658A2
	v_and_b32_e32 v44, 15, v0                                  // 000000006694: 2658008F
	v_mul_i32_i24_e32 v45, 2, v44                              // 000000006698: 0C5A5882
	v_add_u32_e32 v3, v45, v3                                  // 00000000669C: 6806072D
	s_mul_i32 s60, s5, 0x88                                    // 0000000066A0: 923CFF05 00000088
	v_add_u32_e32 v3, s60, v3                                  // 0000000066A8: 6806063C
	v_lshlrev_b32_e32 v3, 2, v3                                // 0000000066AC: 24060682
	v_lshrrev_b32_e32 v44, 1, v0                               // 0000000066B0: 20580081
	v_mul_i32_i24_e32 v4, 34, v44                              // 0000000066B4: 0C0858A2
	v_and_b32_e32 v45, 1, v0                                   // 0000000066B8: 265A0081
	v_add_u32_e32 v4, v45, v4                                  // 0000000066BC: 6808092D
	s_mul_i32 s60, s5, 2                                       // 0000000066C0: 923C8205
	v_add_u32_e32 v4, s60, v4                                  // 0000000066C4: 6808083C
	v_lshlrev_b32_e32 v4, 2, v4                                // 0000000066C8: 24080882
	v_mul_f32_dpp v128, v16, v128 row_newbcast:0 row_mask:0xf bank_mask:0xf// 0000000066CC: 0B0100FA FF015010
	v_mul_f32_dpp v129, v16, v129 row_newbcast:1 row_mask:0xf bank_mask:0xf// 0000000066D4: 0B0302FA FF015110
	v_mul_f32_dpp v130, v16, v130 row_newbcast:2 row_mask:0xf bank_mask:0xf// 0000000066DC: 0B0504FA FF015210
	v_mul_f32_dpp v131, v16, v131 row_newbcast:3 row_mask:0xf bank_mask:0xf// 0000000066E4: 0B0706FA FF015310
	v_mul_f32_dpp v132, v16, v132 row_newbcast:0 row_mask:0xf bank_mask:0xf// 0000000066EC: 0B0908FA FF015010
	v_mul_f32_dpp v133, v16, v133 row_newbcast:1 row_mask:0xf bank_mask:0xf// 0000000066F4: 0B0B0AFA FF015110
	v_mul_f32_dpp v134, v16, v134 row_newbcast:2 row_mask:0xf bank_mask:0xf// 0000000066FC: 0B0D0CFA FF015210
	v_mul_f32_dpp v135, v16, v135 row_newbcast:3 row_mask:0xf bank_mask:0xf// 000000006704: 0B0F0EFA FF015310
	v_mul_f32_dpp v136, v16, v136 row_newbcast:4 row_mask:0xf bank_mask:0xf// 00000000670C: 0B1110FA FF015410
	v_mul_f32_dpp v137, v16, v137 row_newbcast:5 row_mask:0xf bank_mask:0xf// 000000006714: 0B1312FA FF015510
	v_mul_f32_dpp v138, v16, v138 row_newbcast:6 row_mask:0xf bank_mask:0xf// 00000000671C: 0B1514FA FF015610
	v_mul_f32_dpp v139, v16, v139 row_newbcast:7 row_mask:0xf bank_mask:0xf// 000000006724: 0B1716FA FF015710
	v_mul_f32_dpp v140, v16, v140 row_newbcast:4 row_mask:0xf bank_mask:0xf// 00000000672C: 0B1918FA FF015410
	v_mul_f32_dpp v141, v16, v141 row_newbcast:5 row_mask:0xf bank_mask:0xf// 000000006734: 0B1B1AFA FF015510
	v_mul_f32_dpp v142, v16, v142 row_newbcast:6 row_mask:0xf bank_mask:0xf// 00000000673C: 0B1D1CFA FF015610
	v_mul_f32_dpp v143, v16, v143 row_newbcast:7 row_mask:0xf bank_mask:0xf// 000000006744: 0B1F1EFA FF015710
	v_mul_f32_dpp v144, v16, v144 row_newbcast:8 row_mask:0xf bank_mask:0xf// 00000000674C: 0B2120FA FF015810
	v_mul_f32_dpp v145, v16, v145 row_newbcast:9 row_mask:0xf bank_mask:0xf// 000000006754: 0B2322FA FF015910
	v_mul_f32_dpp v146, v16, v146 row_newbcast:10 row_mask:0xf bank_mask:0xf// 00000000675C: 0B2524FA FF015A10
	v_mul_f32_dpp v147, v16, v147 row_newbcast:11 row_mask:0xf bank_mask:0xf// 000000006764: 0B2726FA FF015B10
	v_mul_f32_dpp v148, v16, v148 row_newbcast:8 row_mask:0xf bank_mask:0xf// 00000000676C: 0B2928FA FF015810
	v_mul_f32_dpp v149, v16, v149 row_newbcast:9 row_mask:0xf bank_mask:0xf// 000000006774: 0B2B2AFA FF015910
	v_mul_f32_dpp v150, v16, v150 row_newbcast:10 row_mask:0xf bank_mask:0xf// 00000000677C: 0B2D2CFA FF015A10
	v_mul_f32_dpp v151, v16, v151 row_newbcast:11 row_mask:0xf bank_mask:0xf// 000000006784: 0B2F2EFA FF015B10
	v_mul_f32_dpp v152, v16, v152 row_newbcast:12 row_mask:0xf bank_mask:0xf// 00000000678C: 0B3130FA FF015C10
	v_mul_f32_dpp v153, v16, v153 row_newbcast:13 row_mask:0xf bank_mask:0xf// 000000006794: 0B3332FA FF015D10
	v_mul_f32_dpp v154, v16, v154 row_newbcast:14 row_mask:0xf bank_mask:0xf// 00000000679C: 0B3534FA FF015E10
	v_mul_f32_dpp v155, v16, v155 row_newbcast:15 row_mask:0xf bank_mask:0xf// 0000000067A4: 0B3736FA FF015F10
	v_mul_f32_dpp v156, v16, v156 row_newbcast:12 row_mask:0xf bank_mask:0xf// 0000000067AC: 0B3938FA FF015C10
	v_mul_f32_dpp v157, v16, v157 row_newbcast:13 row_mask:0xf bank_mask:0xf// 0000000067B4: 0B3B3AFA FF015D10
	v_mul_f32_dpp v158, v16, v158 row_newbcast:14 row_mask:0xf bank_mask:0xf// 0000000067BC: 0B3D3CFA FF015E10
	v_mul_f32_dpp v159, v16, v159 row_newbcast:15 row_mask:0xf bank_mask:0xf// 0000000067C4: 0B3F3EFA FF015F10
	v_mul_f32_dpp v160, v17, v160 row_newbcast:0 row_mask:0xf bank_mask:0xf// 0000000067CC: 0B4140FA FF015011
	v_mul_f32_dpp v161, v17, v161 row_newbcast:1 row_mask:0xf bank_mask:0xf// 0000000067D4: 0B4342FA FF015111
	v_mul_f32_dpp v162, v17, v162 row_newbcast:2 row_mask:0xf bank_mask:0xf// 0000000067DC: 0B4544FA FF015211
	v_mul_f32_dpp v163, v17, v163 row_newbcast:3 row_mask:0xf bank_mask:0xf// 0000000067E4: 0B4746FA FF015311
	v_mul_f32_dpp v164, v17, v164 row_newbcast:0 row_mask:0xf bank_mask:0xf// 0000000067EC: 0B4948FA FF015011
	v_mul_f32_dpp v165, v17, v165 row_newbcast:1 row_mask:0xf bank_mask:0xf// 0000000067F4: 0B4B4AFA FF015111
	v_mul_f32_dpp v166, v17, v166 row_newbcast:2 row_mask:0xf bank_mask:0xf// 0000000067FC: 0B4D4CFA FF015211
	v_mul_f32_dpp v167, v17, v167 row_newbcast:3 row_mask:0xf bank_mask:0xf// 000000006804: 0B4F4EFA FF015311
	v_mul_f32_dpp v168, v17, v168 row_newbcast:4 row_mask:0xf bank_mask:0xf// 00000000680C: 0B5150FA FF015411
	v_mul_f32_dpp v169, v17, v169 row_newbcast:5 row_mask:0xf bank_mask:0xf// 000000006814: 0B5352FA FF015511
	v_mul_f32_dpp v170, v17, v170 row_newbcast:6 row_mask:0xf bank_mask:0xf// 00000000681C: 0B5554FA FF015611
	v_mul_f32_dpp v171, v17, v171 row_newbcast:7 row_mask:0xf bank_mask:0xf// 000000006824: 0B5756FA FF015711
	v_mul_f32_dpp v172, v17, v172 row_newbcast:4 row_mask:0xf bank_mask:0xf// 00000000682C: 0B5958FA FF015411
	v_mul_f32_dpp v173, v17, v173 row_newbcast:5 row_mask:0xf bank_mask:0xf// 000000006834: 0B5B5AFA FF015511
	v_mul_f32_dpp v174, v17, v174 row_newbcast:6 row_mask:0xf bank_mask:0xf// 00000000683C: 0B5D5CFA FF015611
	v_mul_f32_dpp v175, v17, v175 row_newbcast:7 row_mask:0xf bank_mask:0xf// 000000006844: 0B5F5EFA FF015711
	v_mul_f32_dpp v176, v17, v176 row_newbcast:8 row_mask:0xf bank_mask:0xf// 00000000684C: 0B6160FA FF015811
	v_mul_f32_dpp v177, v17, v177 row_newbcast:9 row_mask:0xf bank_mask:0xf// 000000006854: 0B6362FA FF015911
	v_mul_f32_dpp v178, v17, v178 row_newbcast:10 row_mask:0xf bank_mask:0xf// 00000000685C: 0B6564FA FF015A11
	v_mul_f32_dpp v179, v17, v179 row_newbcast:11 row_mask:0xf bank_mask:0xf// 000000006864: 0B6766FA FF015B11
	v_mul_f32_dpp v180, v17, v180 row_newbcast:8 row_mask:0xf bank_mask:0xf// 00000000686C: 0B6968FA FF015811
	v_mul_f32_dpp v181, v17, v181 row_newbcast:9 row_mask:0xf bank_mask:0xf// 000000006874: 0B6B6AFA FF015911
	v_mul_f32_dpp v182, v17, v182 row_newbcast:10 row_mask:0xf bank_mask:0xf// 00000000687C: 0B6D6CFA FF015A11
	v_mul_f32_dpp v183, v17, v183 row_newbcast:11 row_mask:0xf bank_mask:0xf// 000000006884: 0B6F6EFA FF015B11
	v_mul_f32_dpp v184, v17, v184 row_newbcast:12 row_mask:0xf bank_mask:0xf// 00000000688C: 0B7170FA FF015C11
	v_mul_f32_dpp v185, v17, v185 row_newbcast:13 row_mask:0xf bank_mask:0xf// 000000006894: 0B7372FA FF015D11
	v_mul_f32_dpp v186, v17, v186 row_newbcast:14 row_mask:0xf bank_mask:0xf// 00000000689C: 0B7574FA FF015E11
	v_mul_f32_dpp v187, v17, v187 row_newbcast:15 row_mask:0xf bank_mask:0xf// 0000000068A4: 0B7776FA FF015F11
	v_mul_f32_dpp v188, v17, v188 row_newbcast:12 row_mask:0xf bank_mask:0xf// 0000000068AC: 0B7978FA FF015C11
	v_mul_f32_dpp v189, v17, v189 row_newbcast:13 row_mask:0xf bank_mask:0xf// 0000000068B4: 0B7B7AFA FF015D11
	v_mul_f32_dpp v190, v17, v190 row_newbcast:14 row_mask:0xf bank_mask:0xf// 0000000068BC: 0B7D7CFA FF015E11
	v_mul_f32_dpp v191, v17, v191 row_newbcast:15 row_mask:0xf bank_mask:0xf// 0000000068C4: 0B7F7EFA FF015F11
	v_mul_f32_dpp v64, v8, v64 row_newbcast:0 row_mask:0xf bank_mask:0xf// 0000000068CC: 0A8080FA FF015008
	v_mul_f32_dpp v65, v8, v65 row_newbcast:1 row_mask:0xf bank_mask:0xf// 0000000068D4: 0A8282FA FF015108
	v_mul_f32_dpp v66, v8, v66 row_newbcast:2 row_mask:0xf bank_mask:0xf// 0000000068DC: 0A8484FA FF015208
	v_mul_f32_dpp v67, v8, v67 row_newbcast:3 row_mask:0xf bank_mask:0xf// 0000000068E4: 0A8686FA FF015308
	v_mul_f32_dpp v68, v8, v68 row_newbcast:0 row_mask:0xf bank_mask:0xf// 0000000068EC: 0A8888FA FF015008
	v_mul_f32_dpp v69, v8, v69 row_newbcast:1 row_mask:0xf bank_mask:0xf// 0000000068F4: 0A8A8AFA FF015108
	v_mul_f32_dpp v70, v8, v70 row_newbcast:2 row_mask:0xf bank_mask:0xf// 0000000068FC: 0A8C8CFA FF015208
	v_mul_f32_dpp v71, v8, v71 row_newbcast:3 row_mask:0xf bank_mask:0xf// 000000006904: 0A8E8EFA FF015308
	v_mul_f32_dpp v72, v8, v72 row_newbcast:4 row_mask:0xf bank_mask:0xf// 00000000690C: 0A9090FA FF015408
	v_mul_f32_dpp v73, v8, v73 row_newbcast:5 row_mask:0xf bank_mask:0xf// 000000006914: 0A9292FA FF015508
	v_mul_f32_dpp v74, v8, v74 row_newbcast:6 row_mask:0xf bank_mask:0xf// 00000000691C: 0A9494FA FF015608
	v_mul_f32_dpp v75, v8, v75 row_newbcast:7 row_mask:0xf bank_mask:0xf// 000000006924: 0A9696FA FF015708
	v_mul_f32_dpp v76, v8, v76 row_newbcast:4 row_mask:0xf bank_mask:0xf// 00000000692C: 0A9898FA FF015408
	v_mul_f32_dpp v77, v8, v77 row_newbcast:5 row_mask:0xf bank_mask:0xf// 000000006934: 0A9A9AFA FF015508
	v_mul_f32_dpp v78, v8, v78 row_newbcast:6 row_mask:0xf bank_mask:0xf// 00000000693C: 0A9C9CFA FF015608
	v_mul_f32_dpp v79, v8, v79 row_newbcast:7 row_mask:0xf bank_mask:0xf// 000000006944: 0A9E9EFA FF015708
	v_mul_f32_dpp v80, v8, v80 row_newbcast:8 row_mask:0xf bank_mask:0xf// 00000000694C: 0AA0A0FA FF015808
	v_mul_f32_dpp v81, v8, v81 row_newbcast:9 row_mask:0xf bank_mask:0xf// 000000006954: 0AA2A2FA FF015908
	v_mul_f32_dpp v82, v8, v82 row_newbcast:10 row_mask:0xf bank_mask:0xf// 00000000695C: 0AA4A4FA FF015A08
	v_mul_f32_dpp v83, v8, v83 row_newbcast:11 row_mask:0xf bank_mask:0xf// 000000006964: 0AA6A6FA FF015B08
	v_mul_f32_dpp v84, v8, v84 row_newbcast:8 row_mask:0xf bank_mask:0xf// 00000000696C: 0AA8A8FA FF015808
	v_mul_f32_dpp v85, v8, v85 row_newbcast:9 row_mask:0xf bank_mask:0xf// 000000006974: 0AAAAAFA FF015908
	v_mul_f32_dpp v86, v8, v86 row_newbcast:10 row_mask:0xf bank_mask:0xf// 00000000697C: 0AACACFA FF015A08
	v_mul_f32_dpp v87, v8, v87 row_newbcast:11 row_mask:0xf bank_mask:0xf// 000000006984: 0AAEAEFA FF015B08
	v_mul_f32_dpp v88, v8, v88 row_newbcast:12 row_mask:0xf bank_mask:0xf// 00000000698C: 0AB0B0FA FF015C08
	v_mul_f32_dpp v89, v8, v89 row_newbcast:13 row_mask:0xf bank_mask:0xf// 000000006994: 0AB2B2FA FF015D08
	v_mul_f32_dpp v90, v8, v90 row_newbcast:14 row_mask:0xf bank_mask:0xf// 00000000699C: 0AB4B4FA FF015E08
	v_mul_f32_dpp v91, v8, v91 row_newbcast:15 row_mask:0xf bank_mask:0xf// 0000000069A4: 0AB6B6FA FF015F08
	v_mul_f32_dpp v92, v8, v92 row_newbcast:12 row_mask:0xf bank_mask:0xf// 0000000069AC: 0AB8B8FA FF015C08
	v_mul_f32_dpp v93, v8, v93 row_newbcast:13 row_mask:0xf bank_mask:0xf// 0000000069B4: 0ABABAFA FF015D08
	v_mul_f32_dpp v94, v8, v94 row_newbcast:14 row_mask:0xf bank_mask:0xf// 0000000069BC: 0ABCBCFA FF015E08
	v_mul_f32_dpp v95, v8, v95 row_newbcast:15 row_mask:0xf bank_mask:0xf// 0000000069C4: 0ABEBEFA FF015F08
	v_mul_f32_dpp v96, v9, v96 row_newbcast:0 row_mask:0xf bank_mask:0xf// 0000000069CC: 0AC0C0FA FF015009
	v_mul_f32_dpp v97, v9, v97 row_newbcast:1 row_mask:0xf bank_mask:0xf// 0000000069D4: 0AC2C2FA FF015109
	v_mul_f32_dpp v98, v9, v98 row_newbcast:2 row_mask:0xf bank_mask:0xf// 0000000069DC: 0AC4C4FA FF015209
	v_mul_f32_dpp v99, v9, v99 row_newbcast:3 row_mask:0xf bank_mask:0xf// 0000000069E4: 0AC6C6FA FF015309
	v_mul_f32_dpp v100, v9, v100 row_newbcast:0 row_mask:0xf bank_mask:0xf// 0000000069EC: 0AC8C8FA FF015009
	v_mul_f32_dpp v101, v9, v101 row_newbcast:1 row_mask:0xf bank_mask:0xf// 0000000069F4: 0ACACAFA FF015109
	v_mul_f32_dpp v102, v9, v102 row_newbcast:2 row_mask:0xf bank_mask:0xf// 0000000069FC: 0ACCCCFA FF015209
	v_mul_f32_dpp v103, v9, v103 row_newbcast:3 row_mask:0xf bank_mask:0xf// 000000006A04: 0ACECEFA FF015309
	v_mul_f32_dpp v104, v9, v104 row_newbcast:4 row_mask:0xf bank_mask:0xf// 000000006A0C: 0AD0D0FA FF015409
	v_mul_f32_dpp v105, v9, v105 row_newbcast:5 row_mask:0xf bank_mask:0xf// 000000006A14: 0AD2D2FA FF015509
	v_mul_f32_dpp v106, v9, v106 row_newbcast:6 row_mask:0xf bank_mask:0xf// 000000006A1C: 0AD4D4FA FF015609
	v_mul_f32_dpp v107, v9, v107 row_newbcast:7 row_mask:0xf bank_mask:0xf// 000000006A24: 0AD6D6FA FF015709
	v_mul_f32_dpp v108, v9, v108 row_newbcast:4 row_mask:0xf bank_mask:0xf// 000000006A2C: 0AD8D8FA FF015409
	v_mul_f32_dpp v109, v9, v109 row_newbcast:5 row_mask:0xf bank_mask:0xf// 000000006A34: 0ADADAFA FF015509
	v_mul_f32_dpp v110, v9, v110 row_newbcast:6 row_mask:0xf bank_mask:0xf// 000000006A3C: 0ADCDCFA FF015609
	v_mul_f32_dpp v111, v9, v111 row_newbcast:7 row_mask:0xf bank_mask:0xf// 000000006A44: 0ADEDEFA FF015709
	v_mul_f32_dpp v112, v9, v112 row_newbcast:8 row_mask:0xf bank_mask:0xf// 000000006A4C: 0AE0E0FA FF015809
	v_mul_f32_dpp v113, v9, v113 row_newbcast:9 row_mask:0xf bank_mask:0xf// 000000006A54: 0AE2E2FA FF015909
	v_mul_f32_dpp v114, v9, v114 row_newbcast:10 row_mask:0xf bank_mask:0xf// 000000006A5C: 0AE4E4FA FF015A09
	v_mul_f32_dpp v115, v9, v115 row_newbcast:11 row_mask:0xf bank_mask:0xf// 000000006A64: 0AE6E6FA FF015B09
	v_mul_f32_dpp v116, v9, v116 row_newbcast:8 row_mask:0xf bank_mask:0xf// 000000006A6C: 0AE8E8FA FF015809
	v_mul_f32_dpp v117, v9, v117 row_newbcast:9 row_mask:0xf bank_mask:0xf// 000000006A74: 0AEAEAFA FF015909
	v_mul_f32_dpp v118, v9, v118 row_newbcast:10 row_mask:0xf bank_mask:0xf// 000000006A7C: 0AECECFA FF015A09
	v_mul_f32_dpp v119, v9, v119 row_newbcast:11 row_mask:0xf bank_mask:0xf// 000000006A84: 0AEEEEFA FF015B09
	v_mul_f32_dpp v120, v9, v120 row_newbcast:12 row_mask:0xf bank_mask:0xf// 000000006A8C: 0AF0F0FA FF015C09
	v_mul_f32_dpp v121, v9, v121 row_newbcast:13 row_mask:0xf bank_mask:0xf// 000000006A94: 0AF2F2FA FF015D09
	v_mul_f32_dpp v122, v9, v122 row_newbcast:14 row_mask:0xf bank_mask:0xf// 000000006A9C: 0AF4F4FA FF015E09
	v_mul_f32_dpp v123, v9, v123 row_newbcast:15 row_mask:0xf bank_mask:0xf// 000000006AA4: 0AF6F6FA FF015F09
	v_mul_f32_dpp v124, v9, v124 row_newbcast:12 row_mask:0xf bank_mask:0xf// 000000006AAC: 0AF8F8FA FF015C09
	v_mul_f32_dpp v125, v9, v125 row_newbcast:13 row_mask:0xf bank_mask:0xf// 000000006AB4: 0AFAFAFA FF015D09
	v_mul_f32_dpp v126, v9, v126 row_newbcast:14 row_mask:0xf bank_mask:0xf// 000000006ABC: 0AFCFCFA FF015E09
	v_mul_f32_dpp v127, v9, v127 row_newbcast:15 row_mask:0xf bank_mask:0xf// 000000006AC4: 0AFEFEFA FF015F09
	s_waitcnt vmcnt(28)                                        // 000000006ACC: BF8C4F7C
	buffer_load_dwordx4 a[0:3], v48, s[12:15], 0 offen         // 000000006AD0: E05C1000 80830030
	v_mul_f32_e64 v44, -v128, s6                               // 000000006AD8: D105002C 20000D80
	v_mul_f32_e64 v45, -v129, s6                               // 000000006AE0: D105002D 20000D81
	v_mul_f32_e64 v46, -v130, s6                               // 000000006AE8: D105002E 20000D82
	v_mul_f32_e64 v47, -v131, s6                               // 000000006AF0: D105002F 20000D83
	v_exp_f32_e32 v44, v44                                     // 000000006AF8: 7E58412C
	v_exp_f32_e32 v45, v45                                     // 000000006AFC: 7E5A412D
	v_exp_f32_e32 v46, v46                                     // 000000006B00: 7E5C412E
	v_exp_f32_e32 v47, v47                                     // 000000006B04: 7E5E412F
	buffer_load_dwordx4 a[4:7], v49, s[12:15], 0 offen         // 000000006B08: E05C1000 80830431
	v_add_f32_e64 v44, v44, 1.0                                // 000000006B10: D101002C 0001E52C
	v_add_f32_e64 v45, v45, 1.0                                // 000000006B18: D101002D 0001E52D
	v_add_f32_e64 v46, v46, 1.0                                // 000000006B20: D101002E 0001E52E
	v_add_f32_e64 v47, v47, 1.0                                // 000000006B28: D101002F 0001E52F
	v_rcp_f32_e32 v44, v44                                     // 000000006B30: 7E58452C
	v_rcp_f32_e32 v45, v45                                     // 000000006B34: 7E5A452D
	v_rcp_f32_e32 v46, v46                                     // 000000006B38: 7E5C452E
	v_rcp_f32_e32 v47, v47                                     // 000000006B3C: 7E5E452F
	v_pk_mul_f32 v[128:129], v[128:129], v[44:45]              // 000000006B40: D3B14080 18025980
	v_pk_mul_f32 v[130:131], v[130:131], v[46:47]              // 000000006B48: D3B14082 18025D82
	v_pk_mul_f32 v[128:129], v[128:129], v[64:65]              // 000000006B50: D3B14080 18028180
	v_pk_mul_f32 v[130:131], v[130:131], v[66:67]              // 000000006B58: D3B14082 18028582
	buffer_load_dwordx4 a[8:11], v50, s[12:15], 0 offen        // 000000006B60: E05C1000 80830832
	v_mul_f32_e64 v44, -v132, s6                               // 000000006B68: D105002C 20000D84
	v_mul_f32_e64 v45, -v133, s6                               // 000000006B70: D105002D 20000D85
	v_mul_f32_e64 v46, -v134, s6                               // 000000006B78: D105002E 20000D86
	v_mul_f32_e64 v47, -v135, s6                               // 000000006B80: D105002F 20000D87
	v_exp_f32_e32 v44, v44                                     // 000000006B88: 7E58412C
	v_exp_f32_e32 v45, v45                                     // 000000006B8C: 7E5A412D
	v_exp_f32_e32 v46, v46                                     // 000000006B90: 7E5C412E
	v_exp_f32_e32 v47, v47                                     // 000000006B94: 7E5E412F
	buffer_load_dwordx4 a[12:15], v51, s[12:15], 0 offen       // 000000006B98: E05C1000 80830C33
	s_add_u32 s12, s78, s12                                    // 000000006BA0: 800C0C4E
	s_addc_u32 s13, 0, s13                                     // 000000006BA4: 820D0D80
	v_add_f32_e64 v44, v44, 1.0                                // 000000006BA8: D101002C 0001E52C
	v_add_f32_e64 v45, v45, 1.0                                // 000000006BB0: D101002D 0001E52D
	v_add_f32_e64 v46, v46, 1.0                                // 000000006BB8: D101002E 0001E52E
	v_add_f32_e64 v47, v47, 1.0                                // 000000006BC0: D101002F 0001E52F
	v_rcp_f32_e32 v44, v44                                     // 000000006BC8: 7E58452C
	v_rcp_f32_e32 v45, v45                                     // 000000006BCC: 7E5A452D
	v_rcp_f32_e32 v46, v46                                     // 000000006BD0: 7E5C452E
	v_rcp_f32_e32 v47, v47                                     // 000000006BD4: 7E5E452F
	v_pk_mul_f32 v[132:133], v[132:133], v[44:45]              // 000000006BD8: D3B14084 18025984
	v_pk_mul_f32 v[134:135], v[134:135], v[46:47]              // 000000006BE0: D3B14086 18025D86
	v_pk_mul_f32 v[132:133], v[132:133], v[68:69]              // 000000006BE8: D3B14084 18028984
	v_pk_mul_f32 v[134:135], v[134:135], v[70:71]              // 000000006BF0: D3B14086 18028D86
	s_waitcnt vmcnt(28)                                        // 000000006BF8: BF8C4F7C
	buffer_load_dwordx4 a[16:19], v48, s[12:15], 0 offen       // 000000006BFC: E05C1000 80831030
	v_mul_f32_e64 v44, -v136, s6                               // 000000006C04: D105002C 20000D88
	v_mul_f32_e64 v45, -v137, s6                               // 000000006C0C: D105002D 20000D89
	v_mul_f32_e64 v46, -v138, s6                               // 000000006C14: D105002E 20000D8A
	v_mul_f32_e64 v47, -v139, s6                               // 000000006C1C: D105002F 20000D8B
	v_exp_f32_e32 v44, v44                                     // 000000006C24: 7E58412C
	v_exp_f32_e32 v45, v45                                     // 000000006C28: 7E5A412D
	v_exp_f32_e32 v46, v46                                     // 000000006C2C: 7E5C412E
	v_exp_f32_e32 v47, v47                                     // 000000006C30: 7E5E412F
	buffer_load_dwordx4 a[20:23], v49, s[12:15], 0 offen       // 000000006C34: E05C1000 80831431
	v_add_f32_e64 v44, v44, 1.0                                // 000000006C3C: D101002C 0001E52C
	v_add_f32_e64 v45, v45, 1.0                                // 000000006C44: D101002D 0001E52D
	v_add_f32_e64 v46, v46, 1.0                                // 000000006C4C: D101002E 0001E52E
	v_add_f32_e64 v47, v47, 1.0                                // 000000006C54: D101002F 0001E52F
	v_rcp_f32_e32 v44, v44                                     // 000000006C5C: 7E58452C
	v_rcp_f32_e32 v45, v45                                     // 000000006C60: 7E5A452D
	v_rcp_f32_e32 v46, v46                                     // 000000006C64: 7E5C452E
	v_rcp_f32_e32 v47, v47                                     // 000000006C68: 7E5E452F
	v_pk_mul_f32 v[136:137], v[136:137], v[44:45]              // 000000006C6C: D3B14088 18025988
	v_pk_mul_f32 v[138:139], v[138:139], v[46:47]              // 000000006C74: D3B1408A 18025D8A
	v_pk_mul_f32 v[136:137], v[136:137], v[72:73]              // 000000006C7C: D3B14088 18029188
	v_pk_mul_f32 v[138:139], v[138:139], v[74:75]              // 000000006C84: D3B1408A 1802958A
	buffer_load_dwordx4 a[24:27], v50, s[12:15], 0 offen       // 000000006C8C: E05C1000 80831832
	v_mul_f32_e64 v44, -v140, s6                               // 000000006C94: D105002C 20000D8C
	v_mul_f32_e64 v45, -v141, s6                               // 000000006C9C: D105002D 20000D8D
	v_mul_f32_e64 v46, -v142, s6                               // 000000006CA4: D105002E 20000D8E
	v_mul_f32_e64 v47, -v143, s6                               // 000000006CAC: D105002F 20000D8F
	v_exp_f32_e32 v44, v44                                     // 000000006CB4: 7E58412C
	v_exp_f32_e32 v45, v45                                     // 000000006CB8: 7E5A412D
	v_exp_f32_e32 v46, v46                                     // 000000006CBC: 7E5C412E
	v_exp_f32_e32 v47, v47                                     // 000000006CC0: 7E5E412F
	buffer_load_dwordx4 a[28:31], v51, s[12:15], 0 offen       // 000000006CC4: E05C1000 80831C33
	s_add_u32 s12, s78, s12                                    // 000000006CCC: 800C0C4E
	s_addc_u32 s13, 0, s13                                     // 000000006CD0: 820D0D80
	v_add_f32_e64 v44, v44, 1.0                                // 000000006CD4: D101002C 0001E52C
	v_add_f32_e64 v45, v45, 1.0                                // 000000006CDC: D101002D 0001E52D
	v_add_f32_e64 v46, v46, 1.0                                // 000000006CE4: D101002E 0001E52E
	v_add_f32_e64 v47, v47, 1.0                                // 000000006CEC: D101002F 0001E52F
	v_rcp_f32_e32 v44, v44                                     // 000000006CF4: 7E58452C
	v_rcp_f32_e32 v45, v45                                     // 000000006CF8: 7E5A452D
	v_rcp_f32_e32 v46, v46                                     // 000000006CFC: 7E5C452E
	v_rcp_f32_e32 v47, v47                                     // 000000006D00: 7E5E452F
	v_pk_mul_f32 v[140:141], v[140:141], v[44:45]              // 000000006D04: D3B1408C 1802598C
	v_pk_mul_f32 v[142:143], v[142:143], v[46:47]              // 000000006D0C: D3B1408E 18025D8E
	v_pk_mul_f32 v[140:141], v[140:141], v[76:77]              // 000000006D14: D3B1408C 1802998C
	v_pk_mul_f32 v[142:143], v[142:143], v[78:79]              // 000000006D1C: D3B1408E 18029D8E
	s_waitcnt vmcnt(28)                                        // 000000006D24: BF8C4F7C
	buffer_load_dwordx4 a[32:35], v48, s[12:15], 0 offen       // 000000006D28: E05C1000 80832030
	v_mul_f32_e64 v44, -v144, s6                               // 000000006D30: D105002C 20000D90
	v_mul_f32_e64 v45, -v145, s6                               // 000000006D38: D105002D 20000D91
	v_mul_f32_e64 v46, -v146, s6                               // 000000006D40: D105002E 20000D92
	v_mul_f32_e64 v47, -v147, s6                               // 000000006D48: D105002F 20000D93
	v_exp_f32_e32 v44, v44                                     // 000000006D50: 7E58412C
	v_exp_f32_e32 v45, v45                                     // 000000006D54: 7E5A412D
	v_exp_f32_e32 v46, v46                                     // 000000006D58: 7E5C412E
	v_exp_f32_e32 v47, v47                                     // 000000006D5C: 7E5E412F
	buffer_load_dwordx4 a[36:39], v49, s[12:15], 0 offen       // 000000006D60: E05C1000 80832431
	v_add_f32_e64 v44, v44, 1.0                                // 000000006D68: D101002C 0001E52C
	v_add_f32_e64 v45, v45, 1.0                                // 000000006D70: D101002D 0001E52D
	v_add_f32_e64 v46, v46, 1.0                                // 000000006D78: D101002E 0001E52E
	v_add_f32_e64 v47, v47, 1.0                                // 000000006D80: D101002F 0001E52F
	v_rcp_f32_e32 v44, v44                                     // 000000006D88: 7E58452C
	v_rcp_f32_e32 v45, v45                                     // 000000006D8C: 7E5A452D
	v_rcp_f32_e32 v46, v46                                     // 000000006D90: 7E5C452E
	v_rcp_f32_e32 v47, v47                                     // 000000006D94: 7E5E452F
	v_pk_mul_f32 v[144:145], v[144:145], v[44:45]              // 000000006D98: D3B14090 18025990
	v_pk_mul_f32 v[146:147], v[146:147], v[46:47]              // 000000006DA0: D3B14092 18025D92
	v_pk_mul_f32 v[144:145], v[144:145], v[80:81]              // 000000006DA8: D3B14090 1802A190
	v_pk_mul_f32 v[146:147], v[146:147], v[82:83]              // 000000006DB0: D3B14092 1802A592
	buffer_load_dwordx4 a[40:43], v50, s[12:15], 0 offen       // 000000006DB8: E05C1000 80832832
	v_mul_f32_e64 v44, -v148, s6                               // 000000006DC0: D105002C 20000D94
	v_mul_f32_e64 v45, -v149, s6                               // 000000006DC8: D105002D 20000D95
	v_mul_f32_e64 v46, -v150, s6                               // 000000006DD0: D105002E 20000D96
	v_mul_f32_e64 v47, -v151, s6                               // 000000006DD8: D105002F 20000D97
	v_exp_f32_e32 v44, v44                                     // 000000006DE0: 7E58412C
	v_exp_f32_e32 v45, v45                                     // 000000006DE4: 7E5A412D
	v_exp_f32_e32 v46, v46                                     // 000000006DE8: 7E5C412E
	v_exp_f32_e32 v47, v47                                     // 000000006DEC: 7E5E412F
	buffer_load_dwordx4 a[44:47], v51, s[12:15], 0 offen       // 000000006DF0: E05C1000 80832C33
	s_add_u32 s12, s78, s12                                    // 000000006DF8: 800C0C4E
	s_addc_u32 s13, 0, s13                                     // 000000006DFC: 820D0D80
	v_add_f32_e64 v44, v44, 1.0                                // 000000006E00: D101002C 0001E52C
	v_add_f32_e64 v45, v45, 1.0                                // 000000006E08: D101002D 0001E52D
	v_add_f32_e64 v46, v46, 1.0                                // 000000006E10: D101002E 0001E52E
	v_add_f32_e64 v47, v47, 1.0                                // 000000006E18: D101002F 0001E52F
	v_rcp_f32_e32 v44, v44                                     // 000000006E20: 7E58452C
	v_rcp_f32_e32 v45, v45                                     // 000000006E24: 7E5A452D
	v_rcp_f32_e32 v46, v46                                     // 000000006E28: 7E5C452E
	v_rcp_f32_e32 v47, v47                                     // 000000006E2C: 7E5E452F
	v_pk_mul_f32 v[148:149], v[148:149], v[44:45]              // 000000006E30: D3B14094 18025994
	v_pk_mul_f32 v[150:151], v[150:151], v[46:47]              // 000000006E38: D3B14096 18025D96
	v_pk_mul_f32 v[148:149], v[148:149], v[84:85]              // 000000006E40: D3B14094 1802A994
	v_pk_mul_f32 v[150:151], v[150:151], v[86:87]              // 000000006E48: D3B14096 1802AD96
	s_waitcnt vmcnt(28)                                        // 000000006E50: BF8C4F7C
	buffer_load_dwordx4 a[48:51], v48, s[12:15], 0 offen       // 000000006E54: E05C1000 80833030
	v_mul_f32_e64 v44, -v152, s6                               // 000000006E5C: D105002C 20000D98
	v_mul_f32_e64 v45, -v153, s6                               // 000000006E64: D105002D 20000D99
	v_mul_f32_e64 v46, -v154, s6                               // 000000006E6C: D105002E 20000D9A
	v_mul_f32_e64 v47, -v155, s6                               // 000000006E74: D105002F 20000D9B
	v_exp_f32_e32 v44, v44                                     // 000000006E7C: 7E58412C
	v_exp_f32_e32 v45, v45                                     // 000000006E80: 7E5A412D
	v_exp_f32_e32 v46, v46                                     // 000000006E84: 7E5C412E
	v_exp_f32_e32 v47, v47                                     // 000000006E88: 7E5E412F
	buffer_load_dwordx4 a[52:55], v49, s[12:15], 0 offen       // 000000006E8C: E05C1000 80833431
	v_add_f32_e64 v44, v44, 1.0                                // 000000006E94: D101002C 0001E52C
	v_add_f32_e64 v45, v45, 1.0                                // 000000006E9C: D101002D 0001E52D
	v_add_f32_e64 v46, v46, 1.0                                // 000000006EA4: D101002E 0001E52E
	v_add_f32_e64 v47, v47, 1.0                                // 000000006EAC: D101002F 0001E52F
	v_rcp_f32_e32 v44, v44                                     // 000000006EB4: 7E58452C
	v_rcp_f32_e32 v45, v45                                     // 000000006EB8: 7E5A452D
	v_rcp_f32_e32 v46, v46                                     // 000000006EBC: 7E5C452E
	v_rcp_f32_e32 v47, v47                                     // 000000006EC0: 7E5E452F
	v_pk_mul_f32 v[152:153], v[152:153], v[44:45]              // 000000006EC4: D3B14098 18025998
	v_pk_mul_f32 v[154:155], v[154:155], v[46:47]              // 000000006ECC: D3B1409A 18025D9A
	v_pk_mul_f32 v[152:153], v[152:153], v[88:89]              // 000000006ED4: D3B14098 1802B198
	v_pk_mul_f32 v[154:155], v[154:155], v[90:91]              // 000000006EDC: D3B1409A 1802B59A
	buffer_load_dwordx4 a[56:59], v50, s[12:15], 0 offen       // 000000006EE4: E05C1000 80833832
	v_mul_f32_e64 v44, -v156, s6                               // 000000006EEC: D105002C 20000D9C
	v_mul_f32_e64 v45, -v157, s6                               // 000000006EF4: D105002D 20000D9D
	v_mul_f32_e64 v46, -v158, s6                               // 000000006EFC: D105002E 20000D9E
	v_mul_f32_e64 v47, -v159, s6                               // 000000006F04: D105002F 20000D9F
	v_exp_f32_e32 v44, v44                                     // 000000006F0C: 7E58412C
	v_exp_f32_e32 v45, v45                                     // 000000006F10: 7E5A412D
	v_exp_f32_e32 v46, v46                                     // 000000006F14: 7E5C412E
	v_exp_f32_e32 v47, v47                                     // 000000006F18: 7E5E412F
	buffer_load_dwordx4 a[60:63], v51, s[12:15], 0 offen       // 000000006F1C: E05C1000 80833C33
	s_add_u32 s12, s78, s12                                    // 000000006F24: 800C0C4E
	s_addc_u32 s13, 0, s13                                     // 000000006F28: 820D0D80
	v_add_f32_e64 v44, v44, 1.0                                // 000000006F2C: D101002C 0001E52C
	v_add_f32_e64 v45, v45, 1.0                                // 000000006F34: D101002D 0001E52D
	v_add_f32_e64 v46, v46, 1.0                                // 000000006F3C: D101002E 0001E52E
	v_add_f32_e64 v47, v47, 1.0                                // 000000006F44: D101002F 0001E52F
	v_rcp_f32_e32 v44, v44                                     // 000000006F4C: 7E58452C
	v_rcp_f32_e32 v45, v45                                     // 000000006F50: 7E5A452D
	v_rcp_f32_e32 v46, v46                                     // 000000006F54: 7E5C452E
	v_rcp_f32_e32 v47, v47                                     // 000000006F58: 7E5E452F
	v_pk_mul_f32 v[156:157], v[156:157], v[44:45]              // 000000006F5C: D3B1409C 1802599C
	v_pk_mul_f32 v[158:159], v[158:159], v[46:47]              // 000000006F64: D3B1409E 18025D9E
	v_pk_mul_f32 v[156:157], v[156:157], v[92:93]              // 000000006F6C: D3B1409C 1802B99C
	v_pk_mul_f32 v[158:159], v[158:159], v[94:95]              // 000000006F74: D3B1409E 1802BD9E
	s_waitcnt vmcnt(28)                                        // 000000006F7C: BF8C4F7C
	buffer_load_dwordx4 a[64:67], v48, s[12:15], 0 offen       // 000000006F80: E05C1000 80834030
	v_mul_f32_e64 v44, -v160, s6                               // 000000006F88: D105002C 20000DA0
	v_mul_f32_e64 v45, -v161, s6                               // 000000006F90: D105002D 20000DA1
	v_mul_f32_e64 v46, -v162, s6                               // 000000006F98: D105002E 20000DA2
	v_mul_f32_e64 v47, -v163, s6                               // 000000006FA0: D105002F 20000DA3
	v_exp_f32_e32 v44, v44                                     // 000000006FA8: 7E58412C
	v_exp_f32_e32 v45, v45                                     // 000000006FAC: 7E5A412D
	v_exp_f32_e32 v46, v46                                     // 000000006FB0: 7E5C412E
	v_exp_f32_e32 v47, v47                                     // 000000006FB4: 7E5E412F
	buffer_load_dwordx4 a[68:71], v49, s[12:15], 0 offen       // 000000006FB8: E05C1000 80834431
	v_add_f32_e64 v44, v44, 1.0                                // 000000006FC0: D101002C 0001E52C
	v_add_f32_e64 v45, v45, 1.0                                // 000000006FC8: D101002D 0001E52D
	v_add_f32_e64 v46, v46, 1.0                                // 000000006FD0: D101002E 0001E52E
	v_add_f32_e64 v47, v47, 1.0                                // 000000006FD8: D101002F 0001E52F
	v_rcp_f32_e32 v44, v44                                     // 000000006FE0: 7E58452C
	v_rcp_f32_e32 v45, v45                                     // 000000006FE4: 7E5A452D
	v_rcp_f32_e32 v46, v46                                     // 000000006FE8: 7E5C452E
	v_rcp_f32_e32 v47, v47                                     // 000000006FEC: 7E5E452F
	v_pk_mul_f32 v[160:161], v[160:161], v[44:45]              // 000000006FF0: D3B140A0 180259A0
	v_pk_mul_f32 v[162:163], v[162:163], v[46:47]              // 000000006FF8: D3B140A2 18025DA2
	v_pk_mul_f32 v[160:161], v[160:161], v[96:97]              // 000000007000: D3B140A0 1802C1A0
	v_pk_mul_f32 v[162:163], v[162:163], v[98:99]              // 000000007008: D3B140A2 1802C5A2
	buffer_load_dwordx4 a[72:75], v50, s[12:15], 0 offen       // 000000007010: E05C1000 80834832
	v_mul_f32_e64 v44, -v164, s6                               // 000000007018: D105002C 20000DA4
	v_mul_f32_e64 v45, -v165, s6                               // 000000007020: D105002D 20000DA5
	v_mul_f32_e64 v46, -v166, s6                               // 000000007028: D105002E 20000DA6
	v_mul_f32_e64 v47, -v167, s6                               // 000000007030: D105002F 20000DA7
	v_exp_f32_e32 v44, v44                                     // 000000007038: 7E58412C
	v_exp_f32_e32 v45, v45                                     // 00000000703C: 7E5A412D
	v_exp_f32_e32 v46, v46                                     // 000000007040: 7E5C412E
	v_exp_f32_e32 v47, v47                                     // 000000007044: 7E5E412F
	buffer_load_dwordx4 a[76:79], v51, s[12:15], 0 offen       // 000000007048: E05C1000 80834C33
	s_add_u32 s12, s78, s12                                    // 000000007050: 800C0C4E
	s_addc_u32 s13, 0, s13                                     // 000000007054: 820D0D80
	v_add_f32_e64 v44, v44, 1.0                                // 000000007058: D101002C 0001E52C
	v_add_f32_e64 v45, v45, 1.0                                // 000000007060: D101002D 0001E52D
	v_add_f32_e64 v46, v46, 1.0                                // 000000007068: D101002E 0001E52E
	v_add_f32_e64 v47, v47, 1.0                                // 000000007070: D101002F 0001E52F
	v_rcp_f32_e32 v44, v44                                     // 000000007078: 7E58452C
	v_rcp_f32_e32 v45, v45                                     // 00000000707C: 7E5A452D
	v_rcp_f32_e32 v46, v46                                     // 000000007080: 7E5C452E
	v_rcp_f32_e32 v47, v47                                     // 000000007084: 7E5E452F
	v_pk_mul_f32 v[164:165], v[164:165], v[44:45]              // 000000007088: D3B140A4 180259A4
	v_pk_mul_f32 v[166:167], v[166:167], v[46:47]              // 000000007090: D3B140A6 18025DA6
	v_pk_mul_f32 v[164:165], v[164:165], v[100:101]            // 000000007098: D3B140A4 1802C9A4
	v_pk_mul_f32 v[166:167], v[166:167], v[102:103]            // 0000000070A0: D3B140A6 1802CDA6
	s_waitcnt vmcnt(28)                                        // 0000000070A8: BF8C4F7C
	buffer_load_dwordx4 a[80:83], v48, s[12:15], 0 offen       // 0000000070AC: E05C1000 80835030
	v_mul_f32_e64 v44, -v168, s6                               // 0000000070B4: D105002C 20000DA8
	v_mul_f32_e64 v45, -v169, s6                               // 0000000070BC: D105002D 20000DA9
	v_mul_f32_e64 v46, -v170, s6                               // 0000000070C4: D105002E 20000DAA
	v_mul_f32_e64 v47, -v171, s6                               // 0000000070CC: D105002F 20000DAB
	v_exp_f32_e32 v44, v44                                     // 0000000070D4: 7E58412C
	v_exp_f32_e32 v45, v45                                     // 0000000070D8: 7E5A412D
	v_exp_f32_e32 v46, v46                                     // 0000000070DC: 7E5C412E
	v_exp_f32_e32 v47, v47                                     // 0000000070E0: 7E5E412F
	buffer_load_dwordx4 a[84:87], v49, s[12:15], 0 offen       // 0000000070E4: E05C1000 80835431
	v_add_f32_e64 v44, v44, 1.0                                // 0000000070EC: D101002C 0001E52C
	v_add_f32_e64 v45, v45, 1.0                                // 0000000070F4: D101002D 0001E52D
	v_add_f32_e64 v46, v46, 1.0                                // 0000000070FC: D101002E 0001E52E
	v_add_f32_e64 v47, v47, 1.0                                // 000000007104: D101002F 0001E52F
	v_rcp_f32_e32 v44, v44                                     // 00000000710C: 7E58452C
	v_rcp_f32_e32 v45, v45                                     // 000000007110: 7E5A452D
	v_rcp_f32_e32 v46, v46                                     // 000000007114: 7E5C452E
	v_rcp_f32_e32 v47, v47                                     // 000000007118: 7E5E452F
	v_pk_mul_f32 v[168:169], v[168:169], v[44:45]              // 00000000711C: D3B140A8 180259A8
	v_pk_mul_f32 v[170:171], v[170:171], v[46:47]              // 000000007124: D3B140AA 18025DAA
	v_pk_mul_f32 v[168:169], v[168:169], v[104:105]            // 00000000712C: D3B140A8 1802D1A8
	v_pk_mul_f32 v[170:171], v[170:171], v[106:107]            // 000000007134: D3B140AA 1802D5AA
	buffer_load_dwordx4 a[88:91], v50, s[12:15], 0 offen       // 00000000713C: E05C1000 80835832
	v_mul_f32_e64 v44, -v172, s6                               // 000000007144: D105002C 20000DAC
	v_mul_f32_e64 v45, -v173, s6                               // 00000000714C: D105002D 20000DAD
	v_mul_f32_e64 v46, -v174, s6                               // 000000007154: D105002E 20000DAE
	v_mul_f32_e64 v47, -v175, s6                               // 00000000715C: D105002F 20000DAF
	v_exp_f32_e32 v44, v44                                     // 000000007164: 7E58412C
	v_exp_f32_e32 v45, v45                                     // 000000007168: 7E5A412D
	v_exp_f32_e32 v46, v46                                     // 00000000716C: 7E5C412E
	v_exp_f32_e32 v47, v47                                     // 000000007170: 7E5E412F
	buffer_load_dwordx4 a[92:95], v51, s[12:15], 0 offen       // 000000007174: E05C1000 80835C33
	s_add_u32 s12, s78, s12                                    // 00000000717C: 800C0C4E
	s_addc_u32 s13, 0, s13                                     // 000000007180: 820D0D80
	v_add_f32_e64 v44, v44, 1.0                                // 000000007184: D101002C 0001E52C
	v_add_f32_e64 v45, v45, 1.0                                // 00000000718C: D101002D 0001E52D
	v_add_f32_e64 v46, v46, 1.0                                // 000000007194: D101002E 0001E52E
	v_add_f32_e64 v47, v47, 1.0                                // 00000000719C: D101002F 0001E52F
	v_rcp_f32_e32 v44, v44                                     // 0000000071A4: 7E58452C
	v_rcp_f32_e32 v45, v45                                     // 0000000071A8: 7E5A452D
	v_rcp_f32_e32 v46, v46                                     // 0000000071AC: 7E5C452E
	v_rcp_f32_e32 v47, v47                                     // 0000000071B0: 7E5E452F
	v_pk_mul_f32 v[172:173], v[172:173], v[44:45]              // 0000000071B4: D3B140AC 180259AC
	v_pk_mul_f32 v[174:175], v[174:175], v[46:47]              // 0000000071BC: D3B140AE 18025DAE
	v_pk_mul_f32 v[172:173], v[172:173], v[108:109]            // 0000000071C4: D3B140AC 1802D9AC
	v_pk_mul_f32 v[174:175], v[174:175], v[110:111]            // 0000000071CC: D3B140AE 1802DDAE
	s_waitcnt vmcnt(28)                                        // 0000000071D4: BF8C4F7C
	buffer_load_dwordx4 a[96:99], v48, s[12:15], 0 offen       // 0000000071D8: E05C1000 80836030
	v_mul_f32_e64 v44, -v176, s6                               // 0000000071E0: D105002C 20000DB0
	v_mul_f32_e64 v45, -v177, s6                               // 0000000071E8: D105002D 20000DB1
	v_mul_f32_e64 v46, -v178, s6                               // 0000000071F0: D105002E 20000DB2
	v_mul_f32_e64 v47, -v179, s6                               // 0000000071F8: D105002F 20000DB3
	v_exp_f32_e32 v44, v44                                     // 000000007200: 7E58412C
	v_exp_f32_e32 v45, v45                                     // 000000007204: 7E5A412D
	v_exp_f32_e32 v46, v46                                     // 000000007208: 7E5C412E
	v_exp_f32_e32 v47, v47                                     // 00000000720C: 7E5E412F
	buffer_load_dwordx4 a[100:103], v49, s[12:15], 0 offen     // 000000007210: E05C1000 80836431
	v_add_f32_e64 v44, v44, 1.0                                // 000000007218: D101002C 0001E52C
	v_add_f32_e64 v45, v45, 1.0                                // 000000007220: D101002D 0001E52D
	v_add_f32_e64 v46, v46, 1.0                                // 000000007228: D101002E 0001E52E
	v_add_f32_e64 v47, v47, 1.0                                // 000000007230: D101002F 0001E52F
	v_rcp_f32_e32 v44, v44                                     // 000000007238: 7E58452C
	v_rcp_f32_e32 v45, v45                                     // 00000000723C: 7E5A452D
	v_rcp_f32_e32 v46, v46                                     // 000000007240: 7E5C452E
	v_rcp_f32_e32 v47, v47                                     // 000000007244: 7E5E452F
	v_pk_mul_f32 v[176:177], v[176:177], v[44:45]              // 000000007248: D3B140B0 180259B0
	v_pk_mul_f32 v[178:179], v[178:179], v[46:47]              // 000000007250: D3B140B2 18025DB2
	v_pk_mul_f32 v[176:177], v[176:177], v[112:113]            // 000000007258: D3B140B0 1802E1B0
	v_pk_mul_f32 v[178:179], v[178:179], v[114:115]            // 000000007260: D3B140B2 1802E5B2
	buffer_load_dwordx4 a[104:107], v50, s[12:15], 0 offen     // 000000007268: E05C1000 80836832
	v_mul_f32_e64 v44, -v180, s6                               // 000000007270: D105002C 20000DB4
	v_mul_f32_e64 v45, -v181, s6                               // 000000007278: D105002D 20000DB5
	v_mul_f32_e64 v46, -v182, s6                               // 000000007280: D105002E 20000DB6
	v_mul_f32_e64 v47, -v183, s6                               // 000000007288: D105002F 20000DB7
	v_exp_f32_e32 v44, v44                                     // 000000007290: 7E58412C
	v_exp_f32_e32 v45, v45                                     // 000000007294: 7E5A412D
	v_exp_f32_e32 v46, v46                                     // 000000007298: 7E5C412E
	v_exp_f32_e32 v47, v47                                     // 00000000729C: 7E5E412F
	buffer_load_dwordx4 a[108:111], v51, s[12:15], 0 offen     // 0000000072A0: E05C1000 80836C33
	s_add_u32 s12, s78, s12                                    // 0000000072A8: 800C0C4E
	s_addc_u32 s13, 0, s13                                     // 0000000072AC: 820D0D80
	v_add_f32_e64 v44, v44, 1.0                                // 0000000072B0: D101002C 0001E52C
	v_add_f32_e64 v45, v45, 1.0                                // 0000000072B8: D101002D 0001E52D
	v_add_f32_e64 v46, v46, 1.0                                // 0000000072C0: D101002E 0001E52E
	v_add_f32_e64 v47, v47, 1.0                                // 0000000072C8: D101002F 0001E52F
	v_rcp_f32_e32 v44, v44                                     // 0000000072D0: 7E58452C
	v_rcp_f32_e32 v45, v45                                     // 0000000072D4: 7E5A452D
	v_rcp_f32_e32 v46, v46                                     // 0000000072D8: 7E5C452E
	v_rcp_f32_e32 v47, v47                                     // 0000000072DC: 7E5E452F
	v_pk_mul_f32 v[180:181], v[180:181], v[44:45]              // 0000000072E0: D3B140B4 180259B4
	v_pk_mul_f32 v[182:183], v[182:183], v[46:47]              // 0000000072E8: D3B140B6 18025DB6
	v_pk_mul_f32 v[180:181], v[180:181], v[116:117]            // 0000000072F0: D3B140B4 1802E9B4
	v_pk_mul_f32 v[182:183], v[182:183], v[118:119]            // 0000000072F8: D3B140B6 1802EDB6
	s_waitcnt vmcnt(28)                                        // 000000007300: BF8C4F7C
	buffer_load_dwordx4 a[112:115], v48, s[12:15], 0 offen     // 000000007304: E05C1000 80837030
	v_mul_f32_e64 v44, -v184, s6                               // 00000000730C: D105002C 20000DB8
	v_mul_f32_e64 v45, -v185, s6                               // 000000007314: D105002D 20000DB9
	v_mul_f32_e64 v46, -v186, s6                               // 00000000731C: D105002E 20000DBA
	v_mul_f32_e64 v47, -v187, s6                               // 000000007324: D105002F 20000DBB
	v_exp_f32_e32 v44, v44                                     // 00000000732C: 7E58412C
	v_exp_f32_e32 v45, v45                                     // 000000007330: 7E5A412D
	v_exp_f32_e32 v46, v46                                     // 000000007334: 7E5C412E
	v_exp_f32_e32 v47, v47                                     // 000000007338: 7E5E412F
	buffer_load_dwordx4 a[116:119], v49, s[12:15], 0 offen     // 00000000733C: E05C1000 80837431
	v_add_f32_e64 v44, v44, 1.0                                // 000000007344: D101002C 0001E52C
	v_add_f32_e64 v45, v45, 1.0                                // 00000000734C: D101002D 0001E52D
	v_add_f32_e64 v46, v46, 1.0                                // 000000007354: D101002E 0001E52E
	v_add_f32_e64 v47, v47, 1.0                                // 00000000735C: D101002F 0001E52F
	v_rcp_f32_e32 v44, v44                                     // 000000007364: 7E58452C
	v_rcp_f32_e32 v45, v45                                     // 000000007368: 7E5A452D
	v_rcp_f32_e32 v46, v46                                     // 00000000736C: 7E5C452E
	v_rcp_f32_e32 v47, v47                                     // 000000007370: 7E5E452F
	v_pk_mul_f32 v[184:185], v[184:185], v[44:45]              // 000000007374: D3B140B8 180259B8
	v_pk_mul_f32 v[186:187], v[186:187], v[46:47]              // 00000000737C: D3B140BA 18025DBA
	v_pk_mul_f32 v[184:185], v[184:185], v[120:121]            // 000000007384: D3B140B8 1802F1B8
	v_pk_mul_f32 v[186:187], v[186:187], v[122:123]            // 00000000738C: D3B140BA 1802F5BA
	buffer_load_dwordx4 a[120:123], v50, s[12:15], 0 offen     // 000000007394: E05C1000 80837832
	v_mul_f32_e64 v44, -v188, s6                               // 00000000739C: D105002C 20000DBC
	v_mul_f32_e64 v45, -v189, s6                               // 0000000073A4: D105002D 20000DBD
	v_mul_f32_e64 v46, -v190, s6                               // 0000000073AC: D105002E 20000DBE
	v_mul_f32_e64 v47, -v191, s6                               // 0000000073B4: D105002F 20000DBF
	v_exp_f32_e32 v44, v44                                     // 0000000073BC: 7E58412C
	v_exp_f32_e32 v45, v45                                     // 0000000073C0: 7E5A412D
	v_exp_f32_e32 v46, v46                                     // 0000000073C4: 7E5C412E
	v_exp_f32_e32 v47, v47                                     // 0000000073C8: 7E5E412F
	buffer_load_dwordx4 a[124:127], v51, s[12:15], 0 offen     // 0000000073CC: E05C1000 80837C33
	v_add_f32_e64 v44, v44, 1.0                                // 0000000073D4: D101002C 0001E52C
	v_add_f32_e64 v45, v45, 1.0                                // 0000000073DC: D101002D 0001E52D
	v_add_f32_e64 v46, v46, 1.0                                // 0000000073E4: D101002E 0001E52E
	v_add_f32_e64 v47, v47, 1.0                                // 0000000073EC: D101002F 0001E52F
	v_rcp_f32_e32 v44, v44                                     // 0000000073F4: 7E58452C
	v_rcp_f32_e32 v45, v45                                     // 0000000073F8: 7E5A452D
	v_rcp_f32_e32 v46, v46                                     // 0000000073FC: 7E5C452E
	v_rcp_f32_e32 v47, v47                                     // 000000007400: 7E5E452F
	v_pk_mul_f32 v[188:189], v[188:189], v[44:45]              // 000000007404: D3B140BC 180259BC
	v_pk_mul_f32 v[190:191], v[190:191], v[46:47]              // 00000000740C: D3B140BE 18025DBE
	v_pk_mul_f32 v[188:189], v[188:189], v[124:125]            // 000000007414: D3B140BC 1802F9BC
	v_pk_mul_f32 v[190:191], v[190:191], v[126:127]            // 00000000741C: D3B140BE 1802FDBE
	v_mul_f32_dpp v128, v18, v128 row_newbcast:0 row_mask:0xf bank_mask:0xf// 000000007424: 0B0100FA FF015012
	v_mul_f32_dpp v129, v18, v129 row_newbcast:1 row_mask:0xf bank_mask:0xf// 00000000742C: 0B0302FA FF015112
	v_mul_f32_dpp v130, v18, v130 row_newbcast:2 row_mask:0xf bank_mask:0xf// 000000007434: 0B0504FA FF015212
	v_mul_f32_dpp v131, v18, v131 row_newbcast:3 row_mask:0xf bank_mask:0xf// 00000000743C: 0B0706FA FF015312
	v_mul_f32_dpp v132, v18, v132 row_newbcast:0 row_mask:0xf bank_mask:0xf// 000000007444: 0B0908FA FF015012
	v_mul_f32_dpp v133, v18, v133 row_newbcast:1 row_mask:0xf bank_mask:0xf// 00000000744C: 0B0B0AFA FF015112
	v_mul_f32_dpp v134, v18, v134 row_newbcast:2 row_mask:0xf bank_mask:0xf// 000000007454: 0B0D0CFA FF015212
	v_mul_f32_dpp v135, v18, v135 row_newbcast:3 row_mask:0xf bank_mask:0xf// 00000000745C: 0B0F0EFA FF015312
	v_mul_f32_dpp v136, v18, v136 row_newbcast:4 row_mask:0xf bank_mask:0xf// 000000007464: 0B1110FA FF015412
	v_mul_f32_dpp v137, v18, v137 row_newbcast:5 row_mask:0xf bank_mask:0xf// 00000000746C: 0B1312FA FF015512
	v_mul_f32_dpp v138, v18, v138 row_newbcast:6 row_mask:0xf bank_mask:0xf// 000000007474: 0B1514FA FF015612
	v_mul_f32_dpp v139, v18, v139 row_newbcast:7 row_mask:0xf bank_mask:0xf// 00000000747C: 0B1716FA FF015712
	v_mul_f32_dpp v140, v18, v140 row_newbcast:4 row_mask:0xf bank_mask:0xf// 000000007484: 0B1918FA FF015412
	v_mul_f32_dpp v141, v18, v141 row_newbcast:5 row_mask:0xf bank_mask:0xf// 00000000748C: 0B1B1AFA FF015512
	v_mul_f32_dpp v142, v18, v142 row_newbcast:6 row_mask:0xf bank_mask:0xf// 000000007494: 0B1D1CFA FF015612
	v_mul_f32_dpp v143, v18, v143 row_newbcast:7 row_mask:0xf bank_mask:0xf// 00000000749C: 0B1F1EFA FF015712
	v_mul_f32_dpp v144, v18, v144 row_newbcast:8 row_mask:0xf bank_mask:0xf// 0000000074A4: 0B2120FA FF015812
	v_mul_f32_dpp v145, v18, v145 row_newbcast:9 row_mask:0xf bank_mask:0xf// 0000000074AC: 0B2322FA FF015912
	v_mul_f32_dpp v146, v18, v146 row_newbcast:10 row_mask:0xf bank_mask:0xf// 0000000074B4: 0B2524FA FF015A12
	v_mul_f32_dpp v147, v18, v147 row_newbcast:11 row_mask:0xf bank_mask:0xf// 0000000074BC: 0B2726FA FF015B12
	v_mul_f32_dpp v148, v18, v148 row_newbcast:8 row_mask:0xf bank_mask:0xf// 0000000074C4: 0B2928FA FF015812
	v_mul_f32_dpp v149, v18, v149 row_newbcast:9 row_mask:0xf bank_mask:0xf// 0000000074CC: 0B2B2AFA FF015912
	v_mul_f32_dpp v150, v18, v150 row_newbcast:10 row_mask:0xf bank_mask:0xf// 0000000074D4: 0B2D2CFA FF015A12
	v_mul_f32_dpp v151, v18, v151 row_newbcast:11 row_mask:0xf bank_mask:0xf// 0000000074DC: 0B2F2EFA FF015B12
	v_mul_f32_dpp v152, v18, v152 row_newbcast:12 row_mask:0xf bank_mask:0xf// 0000000074E4: 0B3130FA FF015C12
	v_mul_f32_dpp v153, v18, v153 row_newbcast:13 row_mask:0xf bank_mask:0xf// 0000000074EC: 0B3332FA FF015D12
	v_mul_f32_dpp v154, v18, v154 row_newbcast:14 row_mask:0xf bank_mask:0xf// 0000000074F4: 0B3534FA FF015E12
	v_mul_f32_dpp v155, v18, v155 row_newbcast:15 row_mask:0xf bank_mask:0xf// 0000000074FC: 0B3736FA FF015F12
	v_mul_f32_dpp v156, v18, v156 row_newbcast:12 row_mask:0xf bank_mask:0xf// 000000007504: 0B3938FA FF015C12
	v_mul_f32_dpp v157, v18, v157 row_newbcast:13 row_mask:0xf bank_mask:0xf// 00000000750C: 0B3B3AFA FF015D12
	v_mul_f32_dpp v158, v18, v158 row_newbcast:14 row_mask:0xf bank_mask:0xf// 000000007514: 0B3D3CFA FF015E12
	v_mul_f32_dpp v159, v18, v159 row_newbcast:15 row_mask:0xf bank_mask:0xf// 00000000751C: 0B3F3EFA FF015F12
	v_mul_f32_dpp v160, v19, v160 row_newbcast:0 row_mask:0xf bank_mask:0xf// 000000007524: 0B4140FA FF015013
	v_mul_f32_dpp v161, v19, v161 row_newbcast:1 row_mask:0xf bank_mask:0xf// 00000000752C: 0B4342FA FF015113
	v_mul_f32_dpp v162, v19, v162 row_newbcast:2 row_mask:0xf bank_mask:0xf// 000000007534: 0B4544FA FF015213
	v_mul_f32_dpp v163, v19, v163 row_newbcast:3 row_mask:0xf bank_mask:0xf// 00000000753C: 0B4746FA FF015313
	v_mul_f32_dpp v164, v19, v164 row_newbcast:0 row_mask:0xf bank_mask:0xf// 000000007544: 0B4948FA FF015013
	v_mul_f32_dpp v165, v19, v165 row_newbcast:1 row_mask:0xf bank_mask:0xf// 00000000754C: 0B4B4AFA FF015113
	v_mul_f32_dpp v166, v19, v166 row_newbcast:2 row_mask:0xf bank_mask:0xf// 000000007554: 0B4D4CFA FF015213
	v_mul_f32_dpp v167, v19, v167 row_newbcast:3 row_mask:0xf bank_mask:0xf// 00000000755C: 0B4F4EFA FF015313
	v_mul_f32_dpp v168, v19, v168 row_newbcast:4 row_mask:0xf bank_mask:0xf// 000000007564: 0B5150FA FF015413
	v_mul_f32_dpp v169, v19, v169 row_newbcast:5 row_mask:0xf bank_mask:0xf// 00000000756C: 0B5352FA FF015513
	v_mul_f32_dpp v170, v19, v170 row_newbcast:6 row_mask:0xf bank_mask:0xf// 000000007574: 0B5554FA FF015613
	v_mul_f32_dpp v171, v19, v171 row_newbcast:7 row_mask:0xf bank_mask:0xf// 00000000757C: 0B5756FA FF015713
	v_mul_f32_dpp v172, v19, v172 row_newbcast:4 row_mask:0xf bank_mask:0xf// 000000007584: 0B5958FA FF015413
	v_mul_f32_dpp v173, v19, v173 row_newbcast:5 row_mask:0xf bank_mask:0xf// 00000000758C: 0B5B5AFA FF015513
	v_mul_f32_dpp v174, v19, v174 row_newbcast:6 row_mask:0xf bank_mask:0xf// 000000007594: 0B5D5CFA FF015613
	v_mul_f32_dpp v175, v19, v175 row_newbcast:7 row_mask:0xf bank_mask:0xf// 00000000759C: 0B5F5EFA FF015713
	v_mul_f32_dpp v176, v19, v176 row_newbcast:8 row_mask:0xf bank_mask:0xf// 0000000075A4: 0B6160FA FF015813
	v_mul_f32_dpp v177, v19, v177 row_newbcast:9 row_mask:0xf bank_mask:0xf// 0000000075AC: 0B6362FA FF015913
	v_mul_f32_dpp v178, v19, v178 row_newbcast:10 row_mask:0xf bank_mask:0xf// 0000000075B4: 0B6564FA FF015A13
	v_mul_f32_dpp v179, v19, v179 row_newbcast:11 row_mask:0xf bank_mask:0xf// 0000000075BC: 0B6766FA FF015B13
	v_mul_f32_dpp v180, v19, v180 row_newbcast:8 row_mask:0xf bank_mask:0xf// 0000000075C4: 0B6968FA FF015813
	v_mul_f32_dpp v181, v19, v181 row_newbcast:9 row_mask:0xf bank_mask:0xf// 0000000075CC: 0B6B6AFA FF015913
	v_mul_f32_dpp v182, v19, v182 row_newbcast:10 row_mask:0xf bank_mask:0xf// 0000000075D4: 0B6D6CFA FF015A13
	v_mul_f32_dpp v183, v19, v183 row_newbcast:11 row_mask:0xf bank_mask:0xf// 0000000075DC: 0B6F6EFA FF015B13
	v_mul_f32_dpp v184, v19, v184 row_newbcast:12 row_mask:0xf bank_mask:0xf// 0000000075E4: 0B7170FA FF015C13
	v_mul_f32_dpp v185, v19, v185 row_newbcast:13 row_mask:0xf bank_mask:0xf// 0000000075EC: 0B7372FA FF015D13
	v_mul_f32_dpp v186, v19, v186 row_newbcast:14 row_mask:0xf bank_mask:0xf// 0000000075F4: 0B7574FA FF015E13
	v_mul_f32_dpp v187, v19, v187 row_newbcast:15 row_mask:0xf bank_mask:0xf// 0000000075FC: 0B7776FA FF015F13
	v_mul_f32_dpp v188, v19, v188 row_newbcast:12 row_mask:0xf bank_mask:0xf// 000000007604: 0B7978FA FF015C13
	v_mul_f32_dpp v189, v19, v189 row_newbcast:13 row_mask:0xf bank_mask:0xf// 00000000760C: 0B7B7AFA FF015D13
	v_mul_f32_dpp v190, v19, v190 row_newbcast:14 row_mask:0xf bank_mask:0xf// 000000007614: 0B7D7CFA FF015E13
	v_mul_f32_dpp v191, v19, v191 row_newbcast:15 row_mask:0xf bank_mask:0xf// 00000000761C: 0B7F7EFA FF015F13
	v_lshlrev_b32_e32 v44, 2, v0                               // 000000007624: 24580082
	s_mul_i32 s60, s82, s71                                    // 000000007628: 923C4752
	v_add_u32_e64 v80, v44, s60                                // 00000000762C: D1340050 0000792C
	v_mov_b32_e32 v81, 0                                       // 000000007634: 7EA20280
	s_mul_i32 s60, s83, s71                                    // 000000007638: 923C4753
	v_add_u32_e64 v82, v44, s60                                // 00000000763C: D1340052 0000792C
	v_mov_b32_e32 v83, 0                                       // 000000007644: 7EA60280
	s_mul_i32 s60, s84, s71                                    // 000000007648: 923C4754
	v_add_u32_e64 v84, v44, s60                                // 00000000764C: D1340054 0000792C
	v_mov_b32_e32 v85, 0                                       // 000000007654: 7EAA0280
	s_mul_i32 s60, s85, s71                                    // 000000007658: 923C4755
	v_add_u32_e64 v86, v44, s60                                // 00000000765C: D1340056 0000792C
	v_mov_b32_e32 v87, 0                                       // 000000007664: 7EAE0280
	s_mul_i32 s60, s86, s71                                    // 000000007668: 923C4756
	v_add_u32_e64 v88, v44, s60                                // 00000000766C: D1340058 0000792C
	v_mov_b32_e32 v89, 0                                       // 000000007674: 7EB20280
	s_mul_i32 s60, s87, s71                                    // 000000007678: 923C4757
	v_add_u32_e64 v90, v44, s60                                // 00000000767C: D134005A 0000792C
	v_mov_b32_e32 v91, 0                                       // 000000007684: 7EB60280
	s_mul_i32 s60, s88, s71                                    // 000000007688: 923C4758
	v_add_u32_e64 v92, v44, s60                                // 00000000768C: D134005C 0000792C
	v_mov_b32_e32 v93, 0                                       // 000000007694: 7EBA0280
	s_mul_i32 s60, s89, s71                                    // 000000007698: 923C4759
	v_add_u32_e64 v94, v44, s60                                // 00000000769C: D134005E 0000792C
	v_mov_b32_e32 v95, 0                                       // 0000000076A4: 7EBE0280
	buffer_load_dword v12, v5, s[16:19], 0 offen               // 0000000076A8: E0501000 80040C05
	v_mov_b32_e32 v22, 0x358637bd                              // 0000000076B0: 7E2C02FF 358637BD
	v_mov_b32_e32 v23, 0x358637bd                              // 0000000076B8: 7E2E02FF 358637BD
	v_max3_f32 v22, |v128|, |v129|, v22                        // 0000000076C0: D1D30316 045B0380
	v_max3_f32 v22, |v130|, |v131|, v22                        // 0000000076C8: D1D30316 045B0782
	v_max3_f32 v23, |v132|, |v133|, v23                        // 0000000076D0: D1D30317 045F0B84
	v_max3_f32 v23, |v134|, |v135|, v23                        // 0000000076D8: D1D30317 045F0F86
	v_max3_f32 v22, |v136|, |v137|, v22                        // 0000000076E0: D1D30316 045B1388
	v_max3_f32 v22, |v138|, |v139|, v22                        // 0000000076E8: D1D30316 045B178A
	v_max3_f32 v23, |v140|, |v141|, v23                        // 0000000076F0: D1D30317 045F1B8C
	v_max3_f32 v23, |v142|, |v143|, v23                        // 0000000076F8: D1D30317 045F1F8E
	v_max3_f32 v22, |v144|, |v145|, v22                        // 000000007700: D1D30316 045B2390
	v_max3_f32 v22, |v146|, |v147|, v22                        // 000000007708: D1D30316 045B2792
	v_max3_f32 v23, |v148|, |v149|, v23                        // 000000007710: D1D30317 045F2B94
	v_max3_f32 v23, |v150|, |v151|, v23                        // 000000007718: D1D30317 045F2F96
	v_max3_f32 v22, |v152|, |v153|, v22                        // 000000007720: D1D30316 045B3398
	v_max3_f32 v22, |v154|, |v155|, v22                        // 000000007728: D1D30316 045B379A
	v_max3_f32 v23, |v156|, |v157|, v23                        // 000000007730: D1D30317 045F3B9C
	v_max3_f32 v23, |v158|, |v159|, v23                        // 000000007738: D1D30317 045F3F9E
	v_max3_f32 v22, |v160|, |v161|, v22                        // 000000007740: D1D30316 045B43A0
	v_max3_f32 v22, |v162|, |v163|, v22                        // 000000007748: D1D30316 045B47A2
	v_max3_f32 v23, |v164|, |v165|, v23                        // 000000007750: D1D30317 045F4BA4
	v_max3_f32 v23, |v166|, |v167|, v23                        // 000000007758: D1D30317 045F4FA6
	v_max3_f32 v22, |v168|, |v169|, v22                        // 000000007760: D1D30316 045B53A8
	v_max3_f32 v22, |v170|, |v171|, v22                        // 000000007768: D1D30316 045B57AA
	v_max3_f32 v23, |v172|, |v173|, v23                        // 000000007770: D1D30317 045F5BAC
	v_max3_f32 v23, |v174|, |v175|, v23                        // 000000007778: D1D30317 045F5FAE
	v_max3_f32 v22, |v176|, |v177|, v22                        // 000000007780: D1D30316 045B63B0
	v_max3_f32 v22, |v178|, |v179|, v22                        // 000000007788: D1D30316 045B67B2
	v_max3_f32 v23, |v180|, |v181|, v23                        // 000000007790: D1D30317 045F6BB4
	v_max3_f32 v23, |v182|, |v183|, v23                        // 000000007798: D1D30317 045F6FB6
	v_max3_f32 v22, |v184|, |v185|, v22                        // 0000000077A0: D1D30316 045B73B8
	v_max3_f32 v22, |v186|, |v187|, v22                        // 0000000077A8: D1D30316 045B77BA
	v_max3_f32 v23, |v188|, |v189|, v23                        // 0000000077B0: D1D30317 045F7BBC
	v_max3_f32 v23, |v190|, |v191|, v23                        // 0000000077B8: D1D30317 045F7FBE
	v_lshlrev_b32_e32 v44, 3, v0                               // 0000000077C0: 24580083
	s_mul_i32 s60, 0x200, s5                                   // 0000000077C4: 923C05FF 00000200
	v_add_u32_e32 v44, s60, v44                                // 0000000077CC: 6858583C
	ds_write_b64 v44, v[22:23]                                 // 0000000077D0: D89A0000 0000162C
	s_waitcnt lgkmcnt(0)                                       // 0000000077D8: BF8CC07F
	s_barrier                                                  // 0000000077DC: BF8A0000
	v_and_b32_e32 v44, 15, v0                                  // 0000000077E0: 2658008F
	v_lshlrev_b32_e32 v44, 3, v44                              // 0000000077E4: 24585883
	ds_read_b64 v[96:97], v44                                  // 0000000077E8: D8EC0000 6000002C
	ds_read_b64 v[98:99], v44 offset:128                       // 0000000077F0: D8EC0080 6200002C
	ds_read_b64 v[100:101], v44 offset:256                     // 0000000077F8: D8EC0100 6400002C
	ds_read_b64 v[102:103], v44 offset:384                     // 000000007800: D8EC0180 6600002C
	ds_read_b64 v[104:105], v44 offset:512                     // 000000007808: D8EC0200 6800002C
	ds_read_b64 v[106:107], v44 offset:640                     // 000000007810: D8EC0280 6A00002C
	ds_read_b64 v[108:109], v44 offset:768                     // 000000007818: D8EC0300 6C00002C
	ds_read_b64 v[110:111], v44 offset:896                     // 000000007820: D8EC0380 6E00002C
	ds_read_b64 v[112:113], v44 offset:1024                    // 000000007828: D8EC0400 7000002C
	ds_read_b64 v[114:115], v44 offset:1152                    // 000000007830: D8EC0480 7200002C
	ds_read_b64 v[116:117], v44 offset:1280                    // 000000007838: D8EC0500 7400002C
	ds_read_b64 v[118:119], v44 offset:1408                    // 000000007840: D8EC0580 7600002C
	ds_read_b64 v[120:121], v44 offset:1536                    // 000000007848: D8EC0600 7800002C
	ds_read_b64 v[122:123], v44 offset:1664                    // 000000007850: D8EC0680 7A00002C
	ds_read_b64 v[124:125], v44 offset:1792                    // 000000007858: D8EC0700 7C00002C
	ds_read_b64 v[126:127], v44 offset:1920                    // 000000007860: D8EC0780 7E00002C
	s_waitcnt lgkmcnt(0)                                       // 000000007868: BF8CC07F
	v_max3_f32 v22, |v96|, |v98|, v22                          // 00000000786C: D1D30316 045AC560
	v_max3_f32 v23, |v97|, |v99|, v23                          // 000000007874: D1D30317 045EC761
	v_max3_f32 v22, |v100|, |v102|, v22                        // 00000000787C: D1D30316 045ACD64
	v_max3_f32 v23, |v101|, |v103|, v23                        // 000000007884: D1D30317 045ECF65
	v_max3_f32 v22, |v104|, |v106|, v22                        // 00000000788C: D1D30316 045AD568
	v_max3_f32 v23, |v105|, |v107|, v23                        // 000000007894: D1D30317 045ED769
	v_max3_f32 v22, |v108|, |v110|, v22                        // 00000000789C: D1D30316 045ADD6C
	v_max3_f32 v23, |v109|, |v111|, v23                        // 0000000078A4: D1D30317 045EDF6D
	v_max3_f32 v22, |v112|, |v114|, v22                        // 0000000078AC: D1D30316 045AE570
	v_max3_f32 v23, |v113|, |v115|, v23                        // 0000000078B4: D1D30317 045EE771
	v_max3_f32 v22, |v116|, |v118|, v22                        // 0000000078BC: D1D30316 045AED74
	v_max3_f32 v23, |v117|, |v119|, v23                        // 0000000078C4: D1D30317 045EEF75
	v_max3_f32 v22, |v120|, |v122|, v22                        // 0000000078CC: D1D30316 045AF578
	v_max3_f32 v23, |v121|, |v123|, v23                        // 0000000078D4: D1D30317 045EF779
	v_max3_f32 v22, |v124|, |v126|, v22                        // 0000000078DC: D1D30316 045AFD7C
	v_max3_f32 v23, |v125|, |v127|, v23                        // 0000000078E4: D1D30317 045EFF7D
	v_rcp_f32_e32 v22, v22                                     // 0000000078EC: 7E2C4516
	v_rcp_f32_e32 v23, v23                                     // 0000000078F0: 7E2E4517
	v_mov_b32_e32 v44, 0x43700000                              // 0000000078F4: 7E5802FF 43700000
	v_mul_f32_e32 v22, v44, v22                                // 0000000078FC: 0A2C2D2C
	v_mul_f32_e32 v23, v44, v23                                // 000000007900: 0A2E2F2C
	v_mul_f32_e32 v128, v22, v128                              // 000000007904: 0B010116
	v_mul_f32_e32 v129, v22, v129                              // 000000007908: 0B030316
	v_mul_f32_e32 v130, v22, v130                              // 00000000790C: 0B050516
	v_mul_f32_e32 v131, v22, v131                              // 000000007910: 0B070716
	v_cvt_pk_fp8_f32 v128, v128, v129                          // 000000007914: D2A20080 00030380
	v_cvt_pk_fp8_f32 v128, v130, v131 op_sel:[0,0,1]           // 00000000791C: D2A24080 00030782
	v_mul_f32_e32 v132, v23, v132                              // 000000007924: 0B090917
	v_mul_f32_e32 v133, v23, v133                              // 000000007928: 0B0B0B17
	v_mul_f32_e32 v134, v23, v134                              // 00000000792C: 0B0D0D17
	v_mul_f32_e32 v135, v23, v135                              // 000000007930: 0B0F0F17
	v_cvt_pk_fp8_f32 v129, v132, v133                          // 000000007934: D2A20081 00030B84
	v_cvt_pk_fp8_f32 v129, v134, v135 op_sel:[0,0,1]           // 00000000793C: D2A24081 00030F86
	v_mul_f32_e32 v136, v22, v136                              // 000000007944: 0B111116
	v_mul_f32_e32 v137, v22, v137                              // 000000007948: 0B131316
	v_mul_f32_e32 v138, v22, v138                              // 00000000794C: 0B151516
	v_mul_f32_e32 v139, v22, v139                              // 000000007950: 0B171716
	v_cvt_pk_fp8_f32 v130, v136, v137                          // 000000007954: D2A20082 00031388
	v_cvt_pk_fp8_f32 v130, v138, v139 op_sel:[0,0,1]           // 00000000795C: D2A24082 0003178A
	v_mul_f32_e32 v140, v23, v140                              // 000000007964: 0B191917
	v_mul_f32_e32 v141, v23, v141                              // 000000007968: 0B1B1B17
	v_mul_f32_e32 v142, v23, v142                              // 00000000796C: 0B1D1D17
	v_mul_f32_e32 v143, v23, v143                              // 000000007970: 0B1F1F17
	v_cvt_pk_fp8_f32 v131, v140, v141                          // 000000007974: D2A20083 00031B8C
	v_cvt_pk_fp8_f32 v131, v142, v143 op_sel:[0,0,1]           // 00000000797C: D2A24083 00031F8E
	v_mul_f32_e32 v144, v22, v144                              // 000000007984: 0B212116
	v_mul_f32_e32 v145, v22, v145                              // 000000007988: 0B232316
	v_mul_f32_e32 v146, v22, v146                              // 00000000798C: 0B252516
	v_mul_f32_e32 v147, v22, v147                              // 000000007990: 0B272716
	v_cvt_pk_fp8_f32 v132, v144, v145                          // 000000007994: D2A20084 00032390
	v_cvt_pk_fp8_f32 v132, v146, v147 op_sel:[0,0,1]           // 00000000799C: D2A24084 00032792
	v_mul_f32_e32 v148, v23, v148                              // 0000000079A4: 0B292917
	v_mul_f32_e32 v149, v23, v149                              // 0000000079A8: 0B2B2B17
	v_mul_f32_e32 v150, v23, v150                              // 0000000079AC: 0B2D2D17
	v_mul_f32_e32 v151, v23, v151                              // 0000000079B0: 0B2F2F17
	v_cvt_pk_fp8_f32 v133, v148, v149                          // 0000000079B4: D2A20085 00032B94
	v_cvt_pk_fp8_f32 v133, v150, v151 op_sel:[0,0,1]           // 0000000079BC: D2A24085 00032F96
	v_mul_f32_e32 v152, v22, v152                              // 0000000079C4: 0B313116
	v_mul_f32_e32 v153, v22, v153                              // 0000000079C8: 0B333316
	v_mul_f32_e32 v154, v22, v154                              // 0000000079CC: 0B353516
	v_mul_f32_e32 v155, v22, v155                              // 0000000079D0: 0B373716
	v_cvt_pk_fp8_f32 v134, v152, v153                          // 0000000079D4: D2A20086 00033398
	v_cvt_pk_fp8_f32 v134, v154, v155 op_sel:[0,0,1]           // 0000000079DC: D2A24086 0003379A
	v_mul_f32_e32 v156, v23, v156                              // 0000000079E4: 0B393917
	v_mul_f32_e32 v157, v23, v157                              // 0000000079E8: 0B3B3B17
	v_mul_f32_e32 v158, v23, v158                              // 0000000079EC: 0B3D3D17
	v_mul_f32_e32 v159, v23, v159                              // 0000000079F0: 0B3F3F17
	v_cvt_pk_fp8_f32 v135, v156, v157                          // 0000000079F4: D2A20087 00033B9C
	v_cvt_pk_fp8_f32 v135, v158, v159 op_sel:[0,0,1]           // 0000000079FC: D2A24087 00033F9E
	v_mul_f32_e32 v160, v22, v160                              // 000000007A04: 0B414116
	v_mul_f32_e32 v161, v22, v161                              // 000000007A08: 0B434316
	v_mul_f32_e32 v162, v22, v162                              // 000000007A0C: 0B454516
	v_mul_f32_e32 v163, v22, v163                              // 000000007A10: 0B474716
	v_cvt_pk_fp8_f32 v136, v160, v161                          // 000000007A14: D2A20088 000343A0
	v_cvt_pk_fp8_f32 v136, v162, v163 op_sel:[0,0,1]           // 000000007A1C: D2A24088 000347A2
	v_mul_f32_e32 v164, v23, v164                              // 000000007A24: 0B494917
	v_mul_f32_e32 v165, v23, v165                              // 000000007A28: 0B4B4B17
	v_mul_f32_e32 v166, v23, v166                              // 000000007A2C: 0B4D4D17
	v_mul_f32_e32 v167, v23, v167                              // 000000007A30: 0B4F4F17
	v_cvt_pk_fp8_f32 v137, v164, v165                          // 000000007A34: D2A20089 00034BA4
	v_cvt_pk_fp8_f32 v137, v166, v167 op_sel:[0,0,1]           // 000000007A3C: D2A24089 00034FA6
	v_mul_f32_e32 v168, v22, v168                              // 000000007A44: 0B515116
	v_mul_f32_e32 v169, v22, v169                              // 000000007A48: 0B535316
	v_mul_f32_e32 v170, v22, v170                              // 000000007A4C: 0B555516
	v_mul_f32_e32 v171, v22, v171                              // 000000007A50: 0B575716
	v_cvt_pk_fp8_f32 v138, v168, v169                          // 000000007A54: D2A2008A 000353A8
	v_cvt_pk_fp8_f32 v138, v170, v171 op_sel:[0,0,1]           // 000000007A5C: D2A2408A 000357AA
	v_mul_f32_e32 v172, v23, v172                              // 000000007A64: 0B595917
	v_mul_f32_e32 v173, v23, v173                              // 000000007A68: 0B5B5B17
	v_mul_f32_e32 v174, v23, v174                              // 000000007A6C: 0B5D5D17
	v_mul_f32_e32 v175, v23, v175                              // 000000007A70: 0B5F5F17
	v_cvt_pk_fp8_f32 v139, v172, v173                          // 000000007A74: D2A2008B 00035BAC
	v_cvt_pk_fp8_f32 v139, v174, v175 op_sel:[0,0,1]           // 000000007A7C: D2A2408B 00035FAE
	v_mul_f32_e32 v176, v22, v176                              // 000000007A84: 0B616116
	v_mul_f32_e32 v177, v22, v177                              // 000000007A88: 0B636316
	v_mul_f32_e32 v178, v22, v178                              // 000000007A8C: 0B656516
	v_mul_f32_e32 v179, v22, v179                              // 000000007A90: 0B676716
	v_cvt_pk_fp8_f32 v140, v176, v177                          // 000000007A94: D2A2008C 000363B0
	v_cvt_pk_fp8_f32 v140, v178, v179 op_sel:[0,0,1]           // 000000007A9C: D2A2408C 000367B2
	v_mul_f32_e32 v180, v23, v180                              // 000000007AA4: 0B696917
	v_mul_f32_e32 v181, v23, v181                              // 000000007AA8: 0B6B6B17
	v_mul_f32_e32 v182, v23, v182                              // 000000007AAC: 0B6D6D17
	v_mul_f32_e32 v183, v23, v183                              // 000000007AB0: 0B6F6F17
	v_cvt_pk_fp8_f32 v141, v180, v181                          // 000000007AB4: D2A2008D 00036BB4
	v_cvt_pk_fp8_f32 v141, v182, v183 op_sel:[0,0,1]           // 000000007ABC: D2A2408D 00036FB6
	v_mul_f32_e32 v184, v22, v184                              // 000000007AC4: 0B717116
	v_mul_f32_e32 v185, v22, v185                              // 000000007AC8: 0B737316
	v_mul_f32_e32 v186, v22, v186                              // 000000007ACC: 0B757516
	v_mul_f32_e32 v187, v22, v187                              // 000000007AD0: 0B777716
	v_cvt_pk_fp8_f32 v142, v184, v185                          // 000000007AD4: D2A2008E 000373B8
	v_cvt_pk_fp8_f32 v142, v186, v187 op_sel:[0,0,1]           // 000000007ADC: D2A2408E 000377BA
	v_mul_f32_e32 v188, v23, v188                              // 000000007AE4: 0B797917
	v_mul_f32_e32 v189, v23, v189                              // 000000007AE8: 0B7B7B17
	v_mul_f32_e32 v190, v23, v190                              // 000000007AEC: 0B7D7D17
	v_mul_f32_e32 v191, v23, v191                              // 000000007AF0: 0B7F7F17
	v_cvt_pk_fp8_f32 v143, v188, v189                          // 000000007AF4: D2A2008F 00037BBC
	v_cvt_pk_fp8_f32 v143, v190, v191 op_sel:[0,0,1]           // 000000007AFC: D2A2408F 00037FBE
	v_rcp_f32_e32 v24, v22                                     // 000000007B04: 7E304516
	v_rcp_f32_e32 v25, v23                                     // 000000007B08: 7E324517
	v_lshrrev_b32_e32 v44, 5, v0                               // 000000007B0C: 20580085
	v_lshlrev_b32_e32 v45, 5, v44                              // 000000007B10: 245A5885
	v_and_b32_e32 v44, 31, v0                                  // 000000007B14: 2658009F
	v_lshrrev_b32_e32 v46, 4, v44                              // 000000007B18: 205C5884
	v_add_u32_e32 v45, v46, v45                                // 000000007B1C: 685A5B2E
	v_and_b32_e32 v44, 15, v0                                  // 000000007B20: 2658008F
	v_lshlrev_b32_e32 v44, 1, v44                              // 000000007B24: 24585881
	v_add_u32_e32 v45, v44, v45                                // 000000007B28: 685A5B2C
	v_lshlrev_b32_e32 v44, 2, v45                              // 000000007B2C: 24585A82
	s_mul_i32 s60, 0x100, s5                                   // 000000007B30: 923C05FF 00000100
	v_add_u32_e64 v44, v44, s60                                // 000000007B38: D134002C 0000792C
	ds_write_b32 v44, v128 offset:2048                         // 000000007B40: D81A0800 0000802C
	ds_write_b32 v44, v129 offset:10240                        // 000000007B48: D81A2800 0000812C
	ds_write_b32 v44, v130 offset:3072                         // 000000007B50: D81A0C00 0000822C
	ds_write_b32 v44, v131 offset:11264                        // 000000007B58: D81A2C00 0000832C
	ds_write_b32 v44, v132 offset:4096                         // 000000007B60: D81A1000 0000842C
	ds_write_b32 v44, v133 offset:12288                        // 000000007B68: D81A3000 0000852C
	ds_write_b32 v44, v134 offset:5120                         // 000000007B70: D81A1400 0000862C
	ds_write_b32 v44, v135 offset:13312                        // 000000007B78: D81A3400 0000872C
	ds_write_b32 v44, v136 offset:6144                         // 000000007B80: D81A1800 0000882C
	ds_write_b32 v44, v137 offset:14336                        // 000000007B88: D81A3800 0000892C
	ds_write_b32 v44, v138 offset:7168                         // 000000007B90: D81A1C00 00008A2C
	ds_write_b32 v44, v139 offset:15360                        // 000000007B98: D81A3C00 00008B2C
	ds_write_b32 v44, v140 offset:8192                         // 000000007BA0: D81A2000 00008C2C
	ds_write_b32 v44, v141 offset:16384                        // 000000007BA8: D81A4000 00008D2C
	ds_write_b32 v44, v142 offset:9216                         // 000000007BB0: D81A2400 00008E2C
	ds_write_b32 v44, v143 offset:17408                        // 000000007BB8: D81A4400 00008F2C
	s_waitcnt lgkmcnt(0)                                       // 000000007BC0: BF8CC07F
	s_barrier                                                  // 000000007BC4: BF8A0000
	v_lshrrev_b32_e32 v44, 4, v0                               // 000000007BC8: 20580084
	v_lshlrev_b32_e32 v45, 6, v44                              // 000000007BCC: 245A5886
	v_and_b32_e32 v44, 15, v0                                  // 000000007BD0: 2658008F
	v_lshlrev_b32_e32 v44, 1, v44                              // 000000007BD4: 24585881
	v_add_u32_e32 v45, v44, v45                                // 000000007BD8: 685A5B2C
	v_lshlrev_b32_e32 v44, 2, v45                              // 000000007BDC: 24585A82
	ds_read_b64 v[128:129], v44 offset:2048                    // 000000007BE0: D8EC0800 8000002C
	ds_read_b64 v[130:131], v44 offset:2176                    // 000000007BE8: D8EC0880 8200002C
	ds_read_b64 v[132:133], v44 offset:3072                    // 000000007BF0: D8EC0C00 8400002C
	ds_read_b64 v[134:135], v44 offset:3200                    // 000000007BF8: D8EC0C80 8600002C
	ds_read_b64 v[136:137], v44 offset:4096                    // 000000007C00: D8EC1000 8800002C
	ds_read_b64 v[138:139], v44 offset:4224                    // 000000007C08: D8EC1080 8A00002C
	ds_read_b64 v[140:141], v44 offset:5120                    // 000000007C10: D8EC1400 8C00002C
	ds_read_b64 v[142:143], v44 offset:5248                    // 000000007C18: D8EC1480 8E00002C
	ds_read_b64 v[144:145], v44 offset:6144                    // 000000007C20: D8EC1800 9000002C
	ds_read_b64 v[146:147], v44 offset:6272                    // 000000007C28: D8EC1880 9200002C
	ds_read_b64 v[148:149], v44 offset:7168                    // 000000007C30: D8EC1C00 9400002C
	ds_read_b64 v[150:151], v44 offset:7296                    // 000000007C38: D8EC1C80 9600002C
	ds_read_b64 v[152:153], v44 offset:8192                    // 000000007C40: D8EC2000 9800002C
	ds_read_b64 v[154:155], v44 offset:8320                    // 000000007C48: D8EC2080 9A00002C
	ds_read_b64 v[156:157], v44 offset:9216                    // 000000007C50: D8EC2400 9C00002C
	ds_read_b64 v[158:159], v44 offset:9344                    // 000000007C58: D8EC2480 9E00002C
	ds_read_b64 v[160:161], v44 offset:10240                   // 000000007C60: D8EC2800 A000002C
	ds_read_b64 v[162:163], v44 offset:10368                   // 000000007C68: D8EC2880 A200002C
	ds_read_b64 v[164:165], v44 offset:11264                   // 000000007C70: D8EC2C00 A400002C
	ds_read_b64 v[166:167], v44 offset:11392                   // 000000007C78: D8EC2C80 A600002C
	ds_read_b64 v[168:169], v44 offset:12288                   // 000000007C80: D8EC3000 A800002C
	ds_read_b64 v[170:171], v44 offset:12416                   // 000000007C88: D8EC3080 AA00002C
	ds_read_b64 v[172:173], v44 offset:13312                   // 000000007C90: D8EC3400 AC00002C
	ds_read_b64 v[174:175], v44 offset:13440                   // 000000007C98: D8EC3480 AE00002C
	ds_read_b64 v[176:177], v44 offset:14336                   // 000000007CA0: D8EC3800 B000002C
	ds_read_b64 v[178:179], v44 offset:14464                   // 000000007CA8: D8EC3880 B200002C
	ds_read_b64 v[180:181], v44 offset:15360                   // 000000007CB0: D8EC3C00 B400002C
	ds_read_b64 v[182:183], v44 offset:15488                   // 000000007CB8: D8EC3C80 B600002C
	ds_read_b64 v[184:185], v44 offset:16384                   // 000000007CC0: D8EC4000 B800002C
	ds_read_b64 v[186:187], v44 offset:16512                   // 000000007CC8: D8EC4080 BA00002C
	ds_read_b64 v[188:189], v44 offset:17408                   // 000000007CD0: D8EC4400 BC00002C
	ds_read_b64 v[190:191], v44 offset:17536                   // 000000007CD8: D8EC4480 BE00002C
	s_add_u32 s12, s56, s12                                    // 000000007CE0: 800C0C38
	s_addc_u32 s13, 0, s13                                     // 000000007CE4: 820D0D80
	s_add_u32 s16, s79, s16                                    // 000000007CE8: 8010104F
	s_addc_u32 s17, 0, s17                                     // 000000007CEC: 82111180
	s_mov_b32 s80, 0                                           // 000000007CF0: BED00080
	s_waitcnt vmcnt(0) expcnt(0) lgkmcnt(0)                    // 000000007CF4: BF8C0000

0000000000007cf8 <label_147E>:
	s_waitcnt vmcnt(45)                                        // 000000007CF8: BF8C8F7D
	s_barrier                                                  // 000000007CFC: BF8A0000
	v_mfma_f32_16x16x32_fp8_fp8 v[192:195], a[0:1], v[128:129], 0// 000000007D00: D3F300C0 0A030100
	v_mfma_f32_16x16x32_fp8_fp8 v[192:195], a[2:3], v[130:131], v[192:195]// 000000007D08: D3F300C0 0F030502
	buffer_load_dwordx4 a[128:131], v48, s[12:15], 0 offen     // 000000007D10: E05C1000 80838030
	v_mfma_f32_16x16x32_fp8_fp8 v[196:199], a[0:1], v[160:161], 0// 000000007D18: D3F300C4 0A034100
	v_mfma_f32_16x16x32_fp8_fp8 v[196:199], a[2:3], v[162:163], v[196:199]// 000000007D20: D3F300C4 0F134502
	v_mfma_f32_16x16x32_fp8_fp8 v[200:203], a[4:5], v[128:129], 0// 000000007D28: D3F300C8 0A030104
	v_mfma_f32_16x16x32_fp8_fp8 v[200:203], a[6:7], v[130:131], v[200:203]// 000000007D30: D3F300C8 0F230506
	buffer_load_dwordx4 a[132:135], v49, s[12:15], 0 offen     // 000000007D38: E05C1000 80838431
	v_mfma_f32_16x16x32_fp8_fp8 v[204:207], a[4:5], v[160:161], 0// 000000007D40: D3F300CC 0A034104
	v_mfma_f32_16x16x32_fp8_fp8 v[204:207], a[6:7], v[162:163], v[204:207]// 000000007D48: D3F300CC 0F334506
	v_mfma_f32_16x16x32_fp8_fp8 v[208:211], a[8:9], v[128:129], 0// 000000007D50: D3F300D0 0A030108
	v_mfma_f32_16x16x32_fp8_fp8 v[208:211], a[10:11], v[130:131], v[208:211]// 000000007D58: D3F300D0 0F43050A
	buffer_load_dwordx4 a[136:139], v50, s[12:15], 0 offen     // 000000007D60: E05C1000 80838832
	v_mfma_f32_16x16x32_fp8_fp8 v[212:215], a[8:9], v[160:161], 0// 000000007D68: D3F300D4 0A034108
	v_mfma_f32_16x16x32_fp8_fp8 v[212:215], a[10:11], v[162:163], v[212:215]// 000000007D70: D3F300D4 0F53450A
	v_mfma_f32_16x16x32_fp8_fp8 v[216:219], a[12:13], v[128:129], 0// 000000007D78: D3F300D8 0A03010C
	v_mfma_f32_16x16x32_fp8_fp8 v[216:219], a[14:15], v[130:131], v[216:219]// 000000007D80: D3F300D8 0F63050E
	buffer_load_dwordx4 a[140:143], v51, s[12:15], 0 offen     // 000000007D88: E05C1000 80838C33
	s_add_u32 s12, s78, s12                                    // 000000007D90: 800C0C4E
	s_addc_u32 s13, 0, s13                                     // 000000007D94: 820D0D80
	v_mfma_f32_16x16x32_fp8_fp8 v[220:223], a[12:13], v[160:161], 0// 000000007D98: D3F300DC 0A03410C
	v_mfma_f32_16x16x32_fp8_fp8 v[220:223], a[14:15], v[162:163], v[220:223]// 000000007DA0: D3F300DC 0F73450E
	s_waitcnt vmcnt(45)                                        // 000000007DA8: BF8C8F7D
	v_mfma_f32_16x16x32_fp8_fp8 v[192:195], a[16:17], v[132:133], v[192:195]// 000000007DAC: D3F300C0 0F030910
	v_mfma_f32_16x16x32_fp8_fp8 v[192:195], a[18:19], v[134:135], v[192:195]// 000000007DB4: D3F300C0 0F030D12
	buffer_load_dwordx4 a[144:147], v48, s[12:15], 0 offen     // 000000007DBC: E05C1000 80839030
	v_mfma_f32_16x16x32_fp8_fp8 v[196:199], a[16:17], v[164:165], v[196:199]// 000000007DC4: D3F300C4 0F134910
	v_mfma_f32_16x16x32_fp8_fp8 v[196:199], a[18:19], v[166:167], v[196:199]// 000000007DCC: D3F300C4 0F134D12
	v_mfma_f32_16x16x32_fp8_fp8 v[200:203], a[20:21], v[132:133], v[200:203]// 000000007DD4: D3F300C8 0F230914
	v_mfma_f32_16x16x32_fp8_fp8 v[200:203], a[22:23], v[134:135], v[200:203]// 000000007DDC: D3F300C8 0F230D16
	buffer_load_dwordx4 a[148:151], v49, s[12:15], 0 offen     // 000000007DE4: E05C1000 80839431
	v_mfma_f32_16x16x32_fp8_fp8 v[204:207], a[20:21], v[164:165], v[204:207]// 000000007DEC: D3F300CC 0F334914
	v_mfma_f32_16x16x32_fp8_fp8 v[204:207], a[22:23], v[166:167], v[204:207]// 000000007DF4: D3F300CC 0F334D16
	v_mfma_f32_16x16x32_fp8_fp8 v[208:211], a[24:25], v[132:133], v[208:211]// 000000007DFC: D3F300D0 0F430918
	v_mfma_f32_16x16x32_fp8_fp8 v[208:211], a[26:27], v[134:135], v[208:211]// 000000007E04: D3F300D0 0F430D1A
	buffer_load_dwordx4 a[152:155], v50, s[12:15], 0 offen     // 000000007E0C: E05C1000 80839832
	v_mfma_f32_16x16x32_fp8_fp8 v[212:215], a[24:25], v[164:165], v[212:215]// 000000007E14: D3F300D4 0F534918
	v_mfma_f32_16x16x32_fp8_fp8 v[212:215], a[26:27], v[166:167], v[212:215]// 000000007E1C: D3F300D4 0F534D1A
	v_mfma_f32_16x16x32_fp8_fp8 v[216:219], a[28:29], v[132:133], v[216:219]// 000000007E24: D3F300D8 0F63091C
	v_mfma_f32_16x16x32_fp8_fp8 v[216:219], a[30:31], v[134:135], v[216:219]// 000000007E2C: D3F300D8 0F630D1E
	buffer_load_dwordx4 a[156:159], v51, s[12:15], 0 offen     // 000000007E34: E05C1000 80839C33
	s_add_u32 s12, s78, s12                                    // 000000007E3C: 800C0C4E
	s_addc_u32 s13, 0, s13                                     // 000000007E40: 820D0D80
	v_mfma_f32_16x16x32_fp8_fp8 v[220:223], a[28:29], v[164:165], v[220:223]// 000000007E44: D3F300DC 0F73491C
	v_mfma_f32_16x16x32_fp8_fp8 v[220:223], a[30:31], v[166:167], v[220:223]// 000000007E4C: D3F300DC 0F734D1E
	s_waitcnt vmcnt(45)                                        // 000000007E54: BF8C8F7D
	v_mfma_f32_16x16x32_fp8_fp8 v[192:195], a[32:33], v[136:137], v[192:195]// 000000007E58: D3F300C0 0F031120
	v_mfma_f32_16x16x32_fp8_fp8 v[192:195], a[34:35], v[138:139], v[192:195]// 000000007E60: D3F300C0 0F031522
	buffer_load_dwordx4 a[160:163], v48, s[12:15], 0 offen     // 000000007E68: E05C1000 8083A030
	v_mfma_f32_16x16x32_fp8_fp8 v[196:199], a[32:33], v[168:169], v[196:199]// 000000007E70: D3F300C4 0F135120
	v_mfma_f32_16x16x32_fp8_fp8 v[196:199], a[34:35], v[170:171], v[196:199]// 000000007E78: D3F300C4 0F135522
	v_mfma_f32_16x16x32_fp8_fp8 v[200:203], a[36:37], v[136:137], v[200:203]// 000000007E80: D3F300C8 0F231124
	v_mfma_f32_16x16x32_fp8_fp8 v[200:203], a[38:39], v[138:139], v[200:203]// 000000007E88: D3F300C8 0F231526
	buffer_load_dwordx4 a[164:167], v49, s[12:15], 0 offen     // 000000007E90: E05C1000 8083A431
	v_mfma_f32_16x16x32_fp8_fp8 v[204:207], a[36:37], v[168:169], v[204:207]// 000000007E98: D3F300CC 0F335124
	v_mfma_f32_16x16x32_fp8_fp8 v[204:207], a[38:39], v[170:171], v[204:207]// 000000007EA0: D3F300CC 0F335526
	v_mfma_f32_16x16x32_fp8_fp8 v[208:211], a[40:41], v[136:137], v[208:211]// 000000007EA8: D3F300D0 0F431128
	v_mfma_f32_16x16x32_fp8_fp8 v[208:211], a[42:43], v[138:139], v[208:211]// 000000007EB0: D3F300D0 0F43152A
	buffer_load_dwordx4 a[168:171], v50, s[12:15], 0 offen     // 000000007EB8: E05C1000 8083A832
	v_mfma_f32_16x16x32_fp8_fp8 v[212:215], a[40:41], v[168:169], v[212:215]// 000000007EC0: D3F300D4 0F535128
	v_mfma_f32_16x16x32_fp8_fp8 v[212:215], a[42:43], v[170:171], v[212:215]// 000000007EC8: D3F300D4 0F53552A
	v_mfma_f32_16x16x32_fp8_fp8 v[216:219], a[44:45], v[136:137], v[216:219]// 000000007ED0: D3F300D8 0F63112C
	v_mfma_f32_16x16x32_fp8_fp8 v[216:219], a[46:47], v[138:139], v[216:219]// 000000007ED8: D3F300D8 0F63152E
	buffer_load_dwordx4 a[172:175], v51, s[12:15], 0 offen     // 000000007EE0: E05C1000 8083AC33
	s_add_u32 s12, s78, s12                                    // 000000007EE8: 800C0C4E
	s_addc_u32 s13, 0, s13                                     // 000000007EEC: 820D0D80
	v_mfma_f32_16x16x32_fp8_fp8 v[220:223], a[44:45], v[168:169], v[220:223]// 000000007EF0: D3F300DC 0F73512C
	v_mfma_f32_16x16x32_fp8_fp8 v[220:223], a[46:47], v[170:171], v[220:223]// 000000007EF8: D3F300DC 0F73552E
	s_waitcnt vmcnt(45)                                        // 000000007F00: BF8C8F7D
	v_mfma_f32_16x16x32_fp8_fp8 v[192:195], a[48:49], v[140:141], v[192:195]// 000000007F04: D3F300C0 0F031930
	v_mfma_f32_16x16x32_fp8_fp8 v[192:195], a[50:51], v[142:143], v[192:195]// 000000007F0C: D3F300C0 0F031D32
	buffer_load_dwordx4 a[176:179], v48, s[12:15], 0 offen     // 000000007F14: E05C1000 8083B030
	v_mfma_f32_16x16x32_fp8_fp8 v[196:199], a[48:49], v[172:173], v[196:199]// 000000007F1C: D3F300C4 0F135930
	v_mfma_f32_16x16x32_fp8_fp8 v[196:199], a[50:51], v[174:175], v[196:199]// 000000007F24: D3F300C4 0F135D32
	v_mfma_f32_16x16x32_fp8_fp8 v[200:203], a[52:53], v[140:141], v[200:203]// 000000007F2C: D3F300C8 0F231934
	v_mfma_f32_16x16x32_fp8_fp8 v[200:203], a[54:55], v[142:143], v[200:203]// 000000007F34: D3F300C8 0F231D36
	buffer_load_dwordx4 a[180:183], v49, s[12:15], 0 offen     // 000000007F3C: E05C1000 8083B431
	v_mfma_f32_16x16x32_fp8_fp8 v[204:207], a[52:53], v[172:173], v[204:207]// 000000007F44: D3F300CC 0F335934
	v_mfma_f32_16x16x32_fp8_fp8 v[204:207], a[54:55], v[174:175], v[204:207]// 000000007F4C: D3F300CC 0F335D36
	v_mfma_f32_16x16x32_fp8_fp8 v[208:211], a[56:57], v[140:141], v[208:211]// 000000007F54: D3F300D0 0F431938
	v_mfma_f32_16x16x32_fp8_fp8 v[208:211], a[58:59], v[142:143], v[208:211]// 000000007F5C: D3F300D0 0F431D3A
	buffer_load_dwordx4 a[184:187], v50, s[12:15], 0 offen     // 000000007F64: E05C1000 8083B832
	v_mfma_f32_16x16x32_fp8_fp8 v[212:215], a[56:57], v[172:173], v[212:215]// 000000007F6C: D3F300D4 0F535938
	v_mfma_f32_16x16x32_fp8_fp8 v[212:215], a[58:59], v[174:175], v[212:215]// 000000007F74: D3F300D4 0F535D3A
	v_mfma_f32_16x16x32_fp8_fp8 v[216:219], a[60:61], v[140:141], v[216:219]// 000000007F7C: D3F300D8 0F63193C
	v_mfma_f32_16x16x32_fp8_fp8 v[216:219], a[62:63], v[142:143], v[216:219]// 000000007F84: D3F300D8 0F631D3E
	buffer_load_dwordx4 a[188:191], v51, s[12:15], 0 offen     // 000000007F8C: E05C1000 8083BC33
	s_add_u32 s12, s78, s12                                    // 000000007F94: 800C0C4E
	s_addc_u32 s13, 0, s13                                     // 000000007F98: 820D0D80
	v_mfma_f32_16x16x32_fp8_fp8 v[220:223], a[60:61], v[172:173], v[220:223]// 000000007F9C: D3F300DC 0F73593C
	v_mfma_f32_16x16x32_fp8_fp8 v[220:223], a[62:63], v[174:175], v[220:223]// 000000007FA4: D3F300DC 0F735D3E
	s_waitcnt vmcnt(45)                                        // 000000007FAC: BF8C8F7D
	v_mfma_f32_16x16x32_fp8_fp8 v[192:195], a[64:65], v[144:145], v[192:195]// 000000007FB0: D3F300C0 0F032140
	v_mfma_f32_16x16x32_fp8_fp8 v[192:195], a[66:67], v[146:147], v[192:195]// 000000007FB8: D3F300C0 0F032542
	buffer_load_dwordx4 a[192:195], v48, s[12:15], 0 offen     // 000000007FC0: E05C1000 8083C030
	v_mfma_f32_16x16x32_fp8_fp8 v[196:199], a[64:65], v[176:177], v[196:199]// 000000007FC8: D3F300C4 0F136140
	v_mfma_f32_16x16x32_fp8_fp8 v[196:199], a[66:67], v[178:179], v[196:199]// 000000007FD0: D3F300C4 0F136542
	v_mfma_f32_16x16x32_fp8_fp8 v[200:203], a[68:69], v[144:145], v[200:203]// 000000007FD8: D3F300C8 0F232144
	v_mfma_f32_16x16x32_fp8_fp8 v[200:203], a[70:71], v[146:147], v[200:203]// 000000007FE0: D3F300C8 0F232546
	buffer_load_dwordx4 a[196:199], v49, s[12:15], 0 offen     // 000000007FE8: E05C1000 8083C431
	v_mfma_f32_16x16x32_fp8_fp8 v[204:207], a[68:69], v[176:177], v[204:207]// 000000007FF0: D3F300CC 0F336144
	v_mfma_f32_16x16x32_fp8_fp8 v[204:207], a[70:71], v[178:179], v[204:207]// 000000007FF8: D3F300CC 0F336546
	v_mfma_f32_16x16x32_fp8_fp8 v[208:211], a[72:73], v[144:145], v[208:211]// 000000008000: D3F300D0 0F432148
	v_mfma_f32_16x16x32_fp8_fp8 v[208:211], a[74:75], v[146:147], v[208:211]// 000000008008: D3F300D0 0F43254A
	buffer_load_dwordx4 a[200:203], v50, s[12:15], 0 offen     // 000000008010: E05C1000 8083C832
	v_mfma_f32_16x16x32_fp8_fp8 v[212:215], a[72:73], v[176:177], v[212:215]// 000000008018: D3F300D4 0F536148
	v_mfma_f32_16x16x32_fp8_fp8 v[212:215], a[74:75], v[178:179], v[212:215]// 000000008020: D3F300D4 0F53654A
	v_mfma_f32_16x16x32_fp8_fp8 v[216:219], a[76:77], v[144:145], v[216:219]// 000000008028: D3F300D8 0F63214C
	v_mfma_f32_16x16x32_fp8_fp8 v[216:219], a[78:79], v[146:147], v[216:219]// 000000008030: D3F300D8 0F63254E
	buffer_load_dwordx4 a[204:207], v51, s[12:15], 0 offen     // 000000008038: E05C1000 8083CC33
	s_add_u32 s12, s78, s12                                    // 000000008040: 800C0C4E
	s_addc_u32 s13, 0, s13                                     // 000000008044: 820D0D80
	v_mfma_f32_16x16x32_fp8_fp8 v[220:223], a[76:77], v[176:177], v[220:223]// 000000008048: D3F300DC 0F73614C
	v_mfma_f32_16x16x32_fp8_fp8 v[220:223], a[78:79], v[178:179], v[220:223]// 000000008050: D3F300DC 0F73654E
	s_waitcnt vmcnt(45)                                        // 000000008058: BF8C8F7D
	v_mfma_f32_16x16x32_fp8_fp8 v[192:195], a[80:81], v[148:149], v[192:195]// 00000000805C: D3F300C0 0F032950
	v_mfma_f32_16x16x32_fp8_fp8 v[192:195], a[82:83], v[150:151], v[192:195]// 000000008064: D3F300C0 0F032D52
	buffer_load_dwordx4 a[208:211], v48, s[12:15], 0 offen     // 00000000806C: E05C1000 8083D030
	v_mfma_f32_16x16x32_fp8_fp8 v[196:199], a[80:81], v[180:181], v[196:199]// 000000008074: D3F300C4 0F136950
	v_mfma_f32_16x16x32_fp8_fp8 v[196:199], a[82:83], v[182:183], v[196:199]// 00000000807C: D3F300C4 0F136D52
	v_mfma_f32_16x16x32_fp8_fp8 v[200:203], a[84:85], v[148:149], v[200:203]// 000000008084: D3F300C8 0F232954
	v_mfma_f32_16x16x32_fp8_fp8 v[200:203], a[86:87], v[150:151], v[200:203]// 00000000808C: D3F300C8 0F232D56
	buffer_load_dwordx4 a[212:215], v49, s[12:15], 0 offen     // 000000008094: E05C1000 8083D431
	v_mfma_f32_16x16x32_fp8_fp8 v[204:207], a[84:85], v[180:181], v[204:207]// 00000000809C: D3F300CC 0F336954
	v_mfma_f32_16x16x32_fp8_fp8 v[204:207], a[86:87], v[182:183], v[204:207]// 0000000080A4: D3F300CC 0F336D56
	v_mfma_f32_16x16x32_fp8_fp8 v[208:211], a[88:89], v[148:149], v[208:211]// 0000000080AC: D3F300D0 0F432958
	v_mfma_f32_16x16x32_fp8_fp8 v[208:211], a[90:91], v[150:151], v[208:211]// 0000000080B4: D3F300D0 0F432D5A
	buffer_load_dwordx4 a[216:219], v50, s[12:15], 0 offen     // 0000000080BC: E05C1000 8083D832
	v_mfma_f32_16x16x32_fp8_fp8 v[212:215], a[88:89], v[180:181], v[212:215]// 0000000080C4: D3F300D4 0F536958
	v_mfma_f32_16x16x32_fp8_fp8 v[212:215], a[90:91], v[182:183], v[212:215]// 0000000080CC: D3F300D4 0F536D5A
	v_mfma_f32_16x16x32_fp8_fp8 v[216:219], a[92:93], v[148:149], v[216:219]// 0000000080D4: D3F300D8 0F63295C
	v_mfma_f32_16x16x32_fp8_fp8 v[216:219], a[94:95], v[150:151], v[216:219]// 0000000080DC: D3F300D8 0F632D5E
	buffer_load_dwordx4 a[220:223], v51, s[12:15], 0 offen     // 0000000080E4: E05C1000 8083DC33
	s_add_u32 s12, s78, s12                                    // 0000000080EC: 800C0C4E
	s_addc_u32 s13, 0, s13                                     // 0000000080F0: 820D0D80
	v_mfma_f32_16x16x32_fp8_fp8 v[220:223], a[92:93], v[180:181], v[220:223]// 0000000080F4: D3F300DC 0F73695C
	v_mfma_f32_16x16x32_fp8_fp8 v[220:223], a[94:95], v[182:183], v[220:223]// 0000000080FC: D3F300DC 0F736D5E
	s_waitcnt vmcnt(45)                                        // 000000008104: BF8C8F7D
	v_mfma_f32_16x16x32_fp8_fp8 v[192:195], a[96:97], v[152:153], v[192:195]// 000000008108: D3F300C0 0F033160
	v_mfma_f32_16x16x32_fp8_fp8 v[192:195], a[98:99], v[154:155], v[192:195]// 000000008110: D3F300C0 0F033562
	buffer_load_dwordx4 a[224:227], v48, s[12:15], 0 offen     // 000000008118: E05C1000 8083E030
	v_mfma_f32_16x16x32_fp8_fp8 v[196:199], a[96:97], v[184:185], v[196:199]// 000000008120: D3F300C4 0F137160
	v_mfma_f32_16x16x32_fp8_fp8 v[196:199], a[98:99], v[186:187], v[196:199]// 000000008128: D3F300C4 0F137562
	v_mfma_f32_16x16x32_fp8_fp8 v[200:203], a[100:101], v[152:153], v[200:203]// 000000008130: D3F300C8 0F233164
	v_mfma_f32_16x16x32_fp8_fp8 v[200:203], a[102:103], v[154:155], v[200:203]// 000000008138: D3F300C8 0F233566
	buffer_load_dwordx4 a[228:231], v49, s[12:15], 0 offen     // 000000008140: E05C1000 8083E431
	v_mfma_f32_16x16x32_fp8_fp8 v[204:207], a[100:101], v[184:185], v[204:207]// 000000008148: D3F300CC 0F337164
	v_mfma_f32_16x16x32_fp8_fp8 v[204:207], a[102:103], v[186:187], v[204:207]// 000000008150: D3F300CC 0F337566
	v_mfma_f32_16x16x32_fp8_fp8 v[208:211], a[104:105], v[152:153], v[208:211]// 000000008158: D3F300D0 0F433168
	v_mfma_f32_16x16x32_fp8_fp8 v[208:211], a[106:107], v[154:155], v[208:211]// 000000008160: D3F300D0 0F43356A
	buffer_load_dwordx4 a[232:235], v50, s[12:15], 0 offen     // 000000008168: E05C1000 8083E832
	v_mfma_f32_16x16x32_fp8_fp8 v[212:215], a[104:105], v[184:185], v[212:215]// 000000008170: D3F300D4 0F537168
	v_mfma_f32_16x16x32_fp8_fp8 v[212:215], a[106:107], v[186:187], v[212:215]// 000000008178: D3F300D4 0F53756A
	v_mfma_f32_16x16x32_fp8_fp8 v[216:219], a[108:109], v[152:153], v[216:219]// 000000008180: D3F300D8 0F63316C
	v_mfma_f32_16x16x32_fp8_fp8 v[216:219], a[110:111], v[154:155], v[216:219]// 000000008188: D3F300D8 0F63356E
	buffer_load_dwordx4 a[236:239], v51, s[12:15], 0 offen     // 000000008190: E05C1000 8083EC33
	s_add_u32 s12, s78, s12                                    // 000000008198: 800C0C4E
	s_addc_u32 s13, 0, s13                                     // 00000000819C: 820D0D80
	v_mfma_f32_16x16x32_fp8_fp8 v[220:223], a[108:109], v[184:185], v[220:223]// 0000000081A0: D3F300DC 0F73716C
	v_mfma_f32_16x16x32_fp8_fp8 v[220:223], a[110:111], v[186:187], v[220:223]// 0000000081A8: D3F300DC 0F73756E
	s_waitcnt vmcnt(44)                                        // 0000000081B0: BF8C8F7C
	v_mfma_f32_16x16x32_fp8_fp8 v[192:195], a[112:113], v[156:157], v[192:195]// 0000000081B4: D3F300C0 0F033970
	v_mfma_f32_16x16x32_fp8_fp8 v[192:195], a[114:115], v[158:159], v[192:195]// 0000000081BC: D3F300C0 0F033D72
	buffer_load_dwordx4 a[240:243], v48, s[12:15], 0 offen     // 0000000081C4: E05C1000 8083F030
	v_mfma_f32_16x16x32_fp8_fp8 v[196:199], a[112:113], v[188:189], v[196:199]// 0000000081CC: D3F300C4 0F137970
	v_mfma_f32_16x16x32_fp8_fp8 v[196:199], a[114:115], v[190:191], v[196:199]// 0000000081D4: D3F300C4 0F137D72
	buffer_load_dword v13, v5, s[16:19], 0 offen               // 0000000081DC: E0501000 80040D05
	v_mfma_f32_16x16x32_fp8_fp8 v[200:203], a[116:117], v[156:157], v[200:203]// 0000000081E4: D3F300C8 0F233974
	v_mfma_f32_16x16x32_fp8_fp8 v[200:203], a[118:119], v[158:159], v[200:203]// 0000000081EC: D3F300C8 0F233D76
	buffer_load_dwordx4 a[244:247], v49, s[12:15], 0 offen     // 0000000081F4: E05C1000 8083F431
	v_mfma_f32_16x16x32_fp8_fp8 v[204:207], a[116:117], v[188:189], v[204:207]// 0000000081FC: D3F300CC 0F337974
	v_mfma_f32_16x16x32_fp8_fp8 v[204:207], a[118:119], v[190:191], v[204:207]// 000000008204: D3F300CC 0F337D76
	v_mfma_f32_16x16x32_fp8_fp8 v[208:211], a[120:121], v[156:157], v[208:211]// 00000000820C: D3F300D0 0F433978
	v_mfma_f32_16x16x32_fp8_fp8 v[208:211], a[122:123], v[158:159], v[208:211]// 000000008214: D3F300D0 0F433D7A
	buffer_load_dwordx4 a[248:251], v50, s[12:15], 0 offen     // 00000000821C: E05C1000 8083F832
	v_mfma_f32_16x16x32_fp8_fp8 v[212:215], a[120:121], v[188:189], v[212:215]// 000000008224: D3F300D4 0F537978
	v_mfma_f32_16x16x32_fp8_fp8 v[212:215], a[122:123], v[190:191], v[212:215]// 00000000822C: D3F300D4 0F537D7A
	v_mfma_f32_16x16x32_fp8_fp8 v[216:219], a[124:125], v[156:157], v[216:219]// 000000008234: D3F300D8 0F63397C
	v_mfma_f32_16x16x32_fp8_fp8 v[216:219], a[126:127], v[158:159], v[216:219]// 00000000823C: D3F300D8 0F633D7E
	buffer_load_dwordx4 a[252:255], v51, s[12:15], 0 offen     // 000000008244: E05C1000 8083FC33
	v_mfma_f32_16x16x32_fp8_fp8 v[220:223], a[124:125], v[188:189], v[220:223]// 00000000824C: D3F300DC 0F73797C
	v_mfma_f32_16x16x32_fp8_fp8 v[220:223], a[126:127], v[190:191], v[220:223]// 000000008254: D3F300DC 0F737D7E
	s_add_u32 s60, 0x200, s80                                  // 00000000825C: 803C50FF 00000200
	s_cmp_lt_u32 s60, s81                                      // 000000008264: BF0A513C
	s_cselect_b32 s56, s56, 0                                  // 000000008268: 85388038
	s_cselect_b32 s78, s78, 0                                  // 00000000826C: 854E804E
	s_cselect_b32 s79, s79, 0                                  // 000000008270: 854F804F
	s_add_u32 s12, s56, s12                                    // 000000008274: 800C0C38
	s_addc_u32 s13, 0, s13                                     // 000000008278: 820D0D80
	s_add_u32 s16, s79, s16                                    // 00000000827C: 8010104F
	s_addc_u32 s17, 0, s17                                     // 000000008280: 82111180
	v_mov_b32_e32 v44, v24                                     // 000000008284: 7E580318
	v_mov_b32_e32 v46, v20                                     // 000000008288: 7E5C0314
	v_mov_b32_e32 v45, v44                                     // 00000000828C: 7E5A032C
	v_mov_b32_e32 v47, v46                                     // 000000008290: 7E5E032E
	v_pk_mul_f32 v[192:193], v[44:45], v[192:193]              // 000000008294: D3B140C0 1803812C
	v_pk_mul_f32 v[194:195], v[44:45], v[194:195]              // 00000000829C: D3B140C2 1803852C
	v_mul_f32_dpp v192, v12, v192 row_newbcast:0 row_mask:0xf bank_mask:0xf// 0000000082A4: 0B8180FA FF01500C
	v_mul_f32_dpp v193, v12, v193 row_newbcast:1 row_mask:0xf bank_mask:0xf// 0000000082AC: 0B8382FA FF01510C
	v_mul_f32_dpp v194, v12, v194 row_newbcast:2 row_mask:0xf bank_mask:0xf// 0000000082B4: 0B8584FA FF01520C
	v_mul_f32_dpp v195, v12, v195 row_newbcast:3 row_mask:0xf bank_mask:0xf// 0000000082BC: 0B8786FA FF01530C
	v_pk_mul_f32 v[192:193], v[46:47], v[192:193]              // 0000000082C4: D3B140C0 1803812E
	v_pk_mul_f32 v[194:195], v[46:47], v[194:195]              // 0000000082CC: D3B140C2 1803852E
	v_pk_mul_f32 v[200:201], v[44:45], v[200:201]              // 0000000082D4: D3B140C8 1803912C
	v_pk_mul_f32 v[202:203], v[44:45], v[202:203]              // 0000000082DC: D3B140CA 1803952C
	v_mul_f32_dpp v200, v12, v200 row_newbcast:4 row_mask:0xf bank_mask:0xf// 0000000082E4: 0B9190FA FF01540C
	v_mul_f32_dpp v201, v12, v201 row_newbcast:5 row_mask:0xf bank_mask:0xf// 0000000082EC: 0B9392FA FF01550C
	v_mul_f32_dpp v202, v12, v202 row_newbcast:6 row_mask:0xf bank_mask:0xf// 0000000082F4: 0B9594FA FF01560C
	v_mul_f32_dpp v203, v12, v203 row_newbcast:7 row_mask:0xf bank_mask:0xf// 0000000082FC: 0B9796FA FF01570C
	v_pk_mul_f32 v[200:201], v[46:47], v[200:201]              // 000000008304: D3B140C8 1803912E
	v_pk_mul_f32 v[202:203], v[46:47], v[202:203]              // 00000000830C: D3B140CA 1803952E
	v_pk_mul_f32 v[208:209], v[44:45], v[208:209]              // 000000008314: D3B140D0 1803A12C
	v_pk_mul_f32 v[210:211], v[44:45], v[210:211]              // 00000000831C: D3B140D2 1803A52C
	v_mul_f32_dpp v208, v12, v208 row_newbcast:8 row_mask:0xf bank_mask:0xf// 000000008324: 0BA1A0FA FF01580C
	v_mul_f32_dpp v209, v12, v209 row_newbcast:9 row_mask:0xf bank_mask:0xf// 00000000832C: 0BA3A2FA FF01590C
	v_mul_f32_dpp v210, v12, v210 row_newbcast:10 row_mask:0xf bank_mask:0xf// 000000008334: 0BA5A4FA FF015A0C
	v_mul_f32_dpp v211, v12, v211 row_newbcast:11 row_mask:0xf bank_mask:0xf// 00000000833C: 0BA7A6FA FF015B0C
	v_pk_mul_f32 v[208:209], v[46:47], v[208:209]              // 000000008344: D3B140D0 1803A12E
	v_pk_mul_f32 v[210:211], v[46:47], v[210:211]              // 00000000834C: D3B140D2 1803A52E
	v_pk_mul_f32 v[216:217], v[44:45], v[216:217]              // 000000008354: D3B140D8 1803B12C
	v_pk_mul_f32 v[218:219], v[44:45], v[218:219]              // 00000000835C: D3B140DA 1803B52C
	v_mul_f32_dpp v216, v12, v216 row_newbcast:12 row_mask:0xf bank_mask:0xf// 000000008364: 0BB1B0FA FF015C0C
	v_mul_f32_dpp v217, v12, v217 row_newbcast:13 row_mask:0xf bank_mask:0xf// 00000000836C: 0BB3B2FA FF015D0C
	v_mul_f32_dpp v218, v12, v218 row_newbcast:14 row_mask:0xf bank_mask:0xf// 000000008374: 0BB5B4FA FF015E0C
	v_mul_f32_dpp v219, v12, v219 row_newbcast:15 row_mask:0xf bank_mask:0xf// 00000000837C: 0BB7B6FA FF015F0C
	v_pk_mul_f32 v[216:217], v[46:47], v[216:217]              // 000000008384: D3B140D8 1803B12E
	v_pk_mul_f32 v[218:219], v[46:47], v[218:219]              // 00000000838C: D3B140DA 1803B52E
	v_mov_b32_e32 v44, v25                                     // 000000008394: 7E580319
	v_mov_b32_e32 v46, v21                                     // 000000008398: 7E5C0315
	v_mov_b32_e32 v45, v44                                     // 00000000839C: 7E5A032C
	v_mov_b32_e32 v47, v46                                     // 0000000083A0: 7E5E032E
	v_pk_mul_f32 v[196:197], v[44:45], v[196:197]              // 0000000083A4: D3B140C4 1803892C
	v_pk_mul_f32 v[198:199], v[44:45], v[198:199]              // 0000000083AC: D3B140C6 18038D2C
	v_mul_f32_dpp v196, v12, v196 row_newbcast:0 row_mask:0xf bank_mask:0xf// 0000000083B4: 0B8988FA FF01500C
	v_mul_f32_dpp v197, v12, v197 row_newbcast:1 row_mask:0xf bank_mask:0xf// 0000000083BC: 0B8B8AFA FF01510C
	v_mul_f32_dpp v198, v12, v198 row_newbcast:2 row_mask:0xf bank_mask:0xf// 0000000083C4: 0B8D8CFA FF01520C
	v_mul_f32_dpp v199, v12, v199 row_newbcast:3 row_mask:0xf bank_mask:0xf// 0000000083CC: 0B8F8EFA FF01530C
	v_pk_mul_f32 v[196:197], v[46:47], v[196:197]              // 0000000083D4: D3B140C4 1803892E
	v_pk_mul_f32 v[198:199], v[46:47], v[198:199]              // 0000000083DC: D3B140C6 18038D2E
	v_pk_mul_f32 v[204:205], v[44:45], v[204:205]              // 0000000083E4: D3B140CC 1803992C
	v_pk_mul_f32 v[206:207], v[44:45], v[206:207]              // 0000000083EC: D3B140CE 18039D2C
	v_mul_f32_dpp v204, v12, v204 row_newbcast:4 row_mask:0xf bank_mask:0xf// 0000000083F4: 0B9998FA FF01540C
	v_mul_f32_dpp v205, v12, v205 row_newbcast:5 row_mask:0xf bank_mask:0xf// 0000000083FC: 0B9B9AFA FF01550C
	v_mul_f32_dpp v206, v12, v206 row_newbcast:6 row_mask:0xf bank_mask:0xf// 000000008404: 0B9D9CFA FF01560C
	v_mul_f32_dpp v207, v12, v207 row_newbcast:7 row_mask:0xf bank_mask:0xf// 00000000840C: 0B9F9EFA FF01570C
	v_pk_mul_f32 v[204:205], v[46:47], v[204:205]              // 000000008414: D3B140CC 1803992E
	v_pk_mul_f32 v[206:207], v[46:47], v[206:207]              // 00000000841C: D3B140CE 18039D2E
	v_pk_mul_f32 v[212:213], v[44:45], v[212:213]              // 000000008424: D3B140D4 1803A92C
	v_pk_mul_f32 v[214:215], v[44:45], v[214:215]              // 00000000842C: D3B140D6 1803AD2C
	v_mul_f32_dpp v212, v12, v212 row_newbcast:8 row_mask:0xf bank_mask:0xf// 000000008434: 0BA9A8FA FF01580C
	v_mul_f32_dpp v213, v12, v213 row_newbcast:9 row_mask:0xf bank_mask:0xf// 00000000843C: 0BABAAFA FF01590C
	v_mul_f32_dpp v214, v12, v214 row_newbcast:10 row_mask:0xf bank_mask:0xf// 000000008444: 0BADACFA FF015A0C
	v_mul_f32_dpp v215, v12, v215 row_newbcast:11 row_mask:0xf bank_mask:0xf// 00000000844C: 0BAFAEFA FF015B0C
	v_pk_mul_f32 v[212:213], v[46:47], v[212:213]              // 000000008454: D3B140D4 1803A92E
	v_pk_mul_f32 v[214:215], v[46:47], v[214:215]              // 00000000845C: D3B140D6 1803AD2E
	v_pk_mul_f32 v[220:221], v[44:45], v[220:221]              // 000000008464: D3B140DC 1803B92C
	v_pk_mul_f32 v[222:223], v[44:45], v[222:223]              // 00000000846C: D3B140DE 1803BD2C
	v_mul_f32_dpp v220, v12, v220 row_newbcast:12 row_mask:0xf bank_mask:0xf// 000000008474: 0BB9B8FA FF015C0C
	v_mul_f32_dpp v221, v12, v221 row_newbcast:13 row_mask:0xf bank_mask:0xf// 00000000847C: 0BBBBAFA FF015D0C
	v_mul_f32_dpp v222, v12, v222 row_newbcast:14 row_mask:0xf bank_mask:0xf// 000000008484: 0BBDBCFA FF015E0C
	v_mul_f32_dpp v223, v12, v223 row_newbcast:15 row_mask:0xf bank_mask:0xf// 00000000848C: 0BBFBEFA FF015F0C
	v_pk_mul_f32 v[220:221], v[46:47], v[220:221]              // 000000008494: D3B140DC 1803B92E
	v_pk_mul_f32 v[222:223], v[46:47], v[222:223]              // 00000000849C: D3B140DE 1803BD2E
	v_cmp_u_f32_e64 s[48:49], v192, v192                       // 0000000084A4: D0480030 000381C0
	v_add3_u32 v52, v192, v55, 1                               // 0000000084AC: D1FF0034 02066FC0
	v_cndmask_b32_e64 v44, v52, v54, s[48:49]                  // 0000000084B4: D100002C 00C26D34
	v_cmp_u_f32_e64 s[48:49], v193, v193                       // 0000000084BC: D0480030 000383C1
	v_add3_u32 v52, v193, v55, 1                               // 0000000084C4: D1FF0034 02066FC1
	v_cndmask_b32_e64 v45, v52, v54, s[48:49]                  // 0000000084CC: D100002D 00C26D34
	v_perm_b32 v192, v45, v44, s52                             // 0000000084D4: D1ED00C0 00D2592D
	v_cmp_u_f32_e64 s[48:49], v194, v194                       // 0000000084DC: D0480030 000385C2
	v_add3_u32 v52, v194, v55, 1                               // 0000000084E4: D1FF0034 02066FC2
	v_cndmask_b32_e64 v44, v52, v54, s[48:49]                  // 0000000084EC: D100002C 00C26D34
	v_cmp_u_f32_e64 s[48:49], v195, v195                       // 0000000084F4: D0480030 000387C3
	v_add3_u32 v52, v195, v55, 1                               // 0000000084FC: D1FF0034 02066FC3
	v_cndmask_b32_e64 v45, v52, v54, s[48:49]                  // 000000008504: D100002D 00C26D34
	v_perm_b32 v193, v45, v44, s52                             // 00000000850C: D1ED00C1 00D2592D
	v_cmp_u_f32_e64 s[48:49], v196, v196                       // 000000008514: D0480030 000389C4
	v_add3_u32 v52, v196, v55, 1                               // 00000000851C: D1FF0034 02066FC4
	v_cndmask_b32_e64 v44, v52, v54, s[48:49]                  // 000000008524: D100002C 00C26D34
	v_cmp_u_f32_e64 s[48:49], v197, v197                       // 00000000852C: D0480030 00038BC5
	v_add3_u32 v52, v197, v55, 1                               // 000000008534: D1FF0034 02066FC5
	v_cndmask_b32_e64 v45, v52, v54, s[48:49]                  // 00000000853C: D100002D 00C26D34
	v_perm_b32 v194, v45, v44, s52                             // 000000008544: D1ED00C2 00D2592D
	v_cmp_u_f32_e64 s[48:49], v198, v198                       // 00000000854C: D0480030 00038DC6
	v_add3_u32 v52, v198, v55, 1                               // 000000008554: D1FF0034 02066FC6
	v_cndmask_b32_e64 v44, v52, v54, s[48:49]                  // 00000000855C: D100002C 00C26D34
	v_cmp_u_f32_e64 s[48:49], v199, v199                       // 000000008564: D0480030 00038FC7
	v_add3_u32 v52, v199, v55, 1                               // 00000000856C: D1FF0034 02066FC7
	v_cndmask_b32_e64 v45, v52, v54, s[48:49]                  // 000000008574: D100002D 00C26D34
	v_perm_b32 v195, v45, v44, s52                             // 00000000857C: D1ED00C3 00D2592D
	v_cmp_u_f32_e64 s[48:49], v200, v200                       // 000000008584: D0480030 000391C8
	v_add3_u32 v52, v200, v55, 1                               // 00000000858C: D1FF0034 02066FC8
	v_cndmask_b32_e64 v44, v52, v54, s[48:49]                  // 000000008594: D100002C 00C26D34
	v_cmp_u_f32_e64 s[48:49], v201, v201                       // 00000000859C: D0480030 000393C9
	v_add3_u32 v52, v201, v55, 1                               // 0000000085A4: D1FF0034 02066FC9
	v_cndmask_b32_e64 v45, v52, v54, s[48:49]                  // 0000000085AC: D100002D 00C26D34
	v_perm_b32 v196, v45, v44, s52                             // 0000000085B4: D1ED00C4 00D2592D
	v_cmp_u_f32_e64 s[48:49], v202, v202                       // 0000000085BC: D0480030 000395CA
	v_add3_u32 v52, v202, v55, 1                               // 0000000085C4: D1FF0034 02066FCA
	v_cndmask_b32_e64 v44, v52, v54, s[48:49]                  // 0000000085CC: D100002C 00C26D34
	v_cmp_u_f32_e64 s[48:49], v203, v203                       // 0000000085D4: D0480030 000397CB
	v_add3_u32 v52, v203, v55, 1                               // 0000000085DC: D1FF0034 02066FCB
	v_cndmask_b32_e64 v45, v52, v54, s[48:49]                  // 0000000085E4: D100002D 00C26D34
	v_perm_b32 v197, v45, v44, s52                             // 0000000085EC: D1ED00C5 00D2592D
	v_cmp_u_f32_e64 s[48:49], v204, v204                       // 0000000085F4: D0480030 000399CC
	v_add3_u32 v52, v204, v55, 1                               // 0000000085FC: D1FF0034 02066FCC
	v_cndmask_b32_e64 v44, v52, v54, s[48:49]                  // 000000008604: D100002C 00C26D34
	v_cmp_u_f32_e64 s[48:49], v205, v205                       // 00000000860C: D0480030 00039BCD
	v_add3_u32 v52, v205, v55, 1                               // 000000008614: D1FF0034 02066FCD
	v_cndmask_b32_e64 v45, v52, v54, s[48:49]                  // 00000000861C: D100002D 00C26D34
	v_perm_b32 v198, v45, v44, s52                             // 000000008624: D1ED00C6 00D2592D
	v_cmp_u_f32_e64 s[48:49], v206, v206                       // 00000000862C: D0480030 00039DCE
	v_add3_u32 v52, v206, v55, 1                               // 000000008634: D1FF0034 02066FCE
	v_cndmask_b32_e64 v44, v52, v54, s[48:49]                  // 00000000863C: D100002C 00C26D34
	v_cmp_u_f32_e64 s[48:49], v207, v207                       // 000000008644: D0480030 00039FCF
	v_add3_u32 v52, v207, v55, 1                               // 00000000864C: D1FF0034 02066FCF
	v_cndmask_b32_e64 v45, v52, v54, s[48:49]                  // 000000008654: D100002D 00C26D34
	v_perm_b32 v199, v45, v44, s52                             // 00000000865C: D1ED00C7 00D2592D
	v_cmp_u_f32_e64 s[48:49], v208, v208                       // 000000008664: D0480030 0003A1D0
	v_add3_u32 v52, v208, v55, 1                               // 00000000866C: D1FF0034 02066FD0
	v_cndmask_b32_e64 v44, v52, v54, s[48:49]                  // 000000008674: D100002C 00C26D34
	v_cmp_u_f32_e64 s[48:49], v209, v209                       // 00000000867C: D0480030 0003A3D1
	v_add3_u32 v52, v209, v55, 1                               // 000000008684: D1FF0034 02066FD1
	v_cndmask_b32_e64 v45, v52, v54, s[48:49]                  // 00000000868C: D100002D 00C26D34
	v_perm_b32 v200, v45, v44, s52                             // 000000008694: D1ED00C8 00D2592D
	v_cmp_u_f32_e64 s[48:49], v210, v210                       // 00000000869C: D0480030 0003A5D2
	v_add3_u32 v52, v210, v55, 1                               // 0000000086A4: D1FF0034 02066FD2
	v_cndmask_b32_e64 v44, v52, v54, s[48:49]                  // 0000000086AC: D100002C 00C26D34
	v_cmp_u_f32_e64 s[48:49], v211, v211                       // 0000000086B4: D0480030 0003A7D3
	v_add3_u32 v52, v211, v55, 1                               // 0000000086BC: D1FF0034 02066FD3
	v_cndmask_b32_e64 v45, v52, v54, s[48:49]                  // 0000000086C4: D100002D 00C26D34
	v_perm_b32 v201, v45, v44, s52                             // 0000000086CC: D1ED00C9 00D2592D
	v_cmp_u_f32_e64 s[48:49], v212, v212                       // 0000000086D4: D0480030 0003A9D4
	v_add3_u32 v52, v212, v55, 1                               // 0000000086DC: D1FF0034 02066FD4
	v_cndmask_b32_e64 v44, v52, v54, s[48:49]                  // 0000000086E4: D100002C 00C26D34
	v_cmp_u_f32_e64 s[48:49], v213, v213                       // 0000000086EC: D0480030 0003ABD5
	v_add3_u32 v52, v213, v55, 1                               // 0000000086F4: D1FF0034 02066FD5
	v_cndmask_b32_e64 v45, v52, v54, s[48:49]                  // 0000000086FC: D100002D 00C26D34
	v_perm_b32 v202, v45, v44, s52                             // 000000008704: D1ED00CA 00D2592D
	v_cmp_u_f32_e64 s[48:49], v214, v214                       // 00000000870C: D0480030 0003ADD6
	v_add3_u32 v52, v214, v55, 1                               // 000000008714: D1FF0034 02066FD6
	v_cndmask_b32_e64 v44, v52, v54, s[48:49]                  // 00000000871C: D100002C 00C26D34
	v_cmp_u_f32_e64 s[48:49], v215, v215                       // 000000008724: D0480030 0003AFD7
	v_add3_u32 v52, v215, v55, 1                               // 00000000872C: D1FF0034 02066FD7
	v_cndmask_b32_e64 v45, v52, v54, s[48:49]                  // 000000008734: D100002D 00C26D34
	v_perm_b32 v203, v45, v44, s52                             // 00000000873C: D1ED00CB 00D2592D
	v_cmp_u_f32_e64 s[48:49], v216, v216                       // 000000008744: D0480030 0003B1D8
	v_add3_u32 v52, v216, v55, 1                               // 00000000874C: D1FF0034 02066FD8
	v_cndmask_b32_e64 v44, v52, v54, s[48:49]                  // 000000008754: D100002C 00C26D34
	v_cmp_u_f32_e64 s[48:49], v217, v217                       // 00000000875C: D0480030 0003B3D9
	v_add3_u32 v52, v217, v55, 1                               // 000000008764: D1FF0034 02066FD9
	v_cndmask_b32_e64 v45, v52, v54, s[48:49]                  // 00000000876C: D100002D 00C26D34
	v_perm_b32 v204, v45, v44, s52                             // 000000008774: D1ED00CC 00D2592D
	v_cmp_u_f32_e64 s[48:49], v218, v218                       // 00000000877C: D0480030 0003B5DA
	v_add3_u32 v52, v218, v55, 1                               // 000000008784: D1FF0034 02066FDA
	v_cndmask_b32_e64 v44, v52, v54, s[48:49]                  // 00000000878C: D100002C 00C26D34
	v_cmp_u_f32_e64 s[48:49], v219, v219                       // 000000008794: D0480030 0003B7DB
	v_add3_u32 v52, v219, v55, 1                               // 00000000879C: D1FF0034 02066FDB
	v_cndmask_b32_e64 v45, v52, v54, s[48:49]                  // 0000000087A4: D100002D 00C26D34
	v_perm_b32 v205, v45, v44, s52                             // 0000000087AC: D1ED00CD 00D2592D
	v_cmp_u_f32_e64 s[48:49], v220, v220                       // 0000000087B4: D0480030 0003B9DC
	v_add3_u32 v52, v220, v55, 1                               // 0000000087BC: D1FF0034 02066FDC
	v_cndmask_b32_e64 v44, v52, v54, s[48:49]                  // 0000000087C4: D100002C 00C26D34
	v_cmp_u_f32_e64 s[48:49], v221, v221                       // 0000000087CC: D0480030 0003BBDD
	v_add3_u32 v52, v221, v55, 1                               // 0000000087D4: D1FF0034 02066FDD
	v_cndmask_b32_e64 v45, v52, v54, s[48:49]                  // 0000000087DC: D100002D 00C26D34
	v_perm_b32 v206, v45, v44, s52                             // 0000000087E4: D1ED00CE 00D2592D
	v_cmp_u_f32_e64 s[48:49], v222, v222                       // 0000000087EC: D0480030 0003BDDE
	v_add3_u32 v52, v222, v55, 1                               // 0000000087F4: D1FF0034 02066FDE
	v_cndmask_b32_e64 v44, v52, v54, s[48:49]                  // 0000000087FC: D100002C 00C26D34
	v_cmp_u_f32_e64 s[48:49], v223, v223                       // 000000008804: D0480030 0003BFDF
	v_add3_u32 v52, v223, v55, 1                               // 00000000880C: D1FF0034 02066FDF
	v_cndmask_b32_e64 v45, v52, v54, s[48:49]                  // 000000008814: D100002D 00C26D34
	v_perm_b32 v207, v45, v44, s52                             // 00000000881C: D1ED00CF 00D2592D
	ds_write_b64 v3, v[192:193] offset:2048                    // 000000008824: D89A0800 0000C003
	ds_write_b64 v3, v[194:195] offset:10752                   // 00000000882C: D89A2A00 0000C203
	ds_write_b64 v3, v[196:197] offset:4224                    // 000000008834: D89A1080 0000C403
	ds_write_b64 v3, v[198:199] offset:12928                   // 00000000883C: D89A3280 0000C603
	ds_write_b64 v3, v[200:201] offset:6400                    // 000000008844: D89A1900 0000C803
	ds_write_b64 v3, v[202:203] offset:15104                   // 00000000884C: D89A3B00 0000CA03
	ds_write_b64 v3, v[204:205] offset:8576                    // 000000008854: D89A2180 0000CC03
	ds_write_b64 v3, v[206:207] offset:17280                   // 00000000885C: D89A4380 0000CE03
	s_waitcnt lgkmcnt(0)                                       // 000000008864: BF8CC07F
	s_barrier                                                  // 000000008868: BF8A0000
	ds_read_b32 v64, v4 offset:2048                            // 00000000886C: D86C0800 40000004
	ds_read_b32 v65, v4 offset:6400                            // 000000008874: D86C1900 41000004
	ds_read_b32 v66, v4 offset:2080                            // 00000000887C: D86C0820 42000004
	ds_read_b32 v67, v4 offset:6432                            // 000000008884: D86C1920 43000004
	ds_read_b32 v68, v4 offset:2112                            // 00000000888C: D86C0840 44000004
	ds_read_b32 v69, v4 offset:6464                            // 000000008894: D86C1940 45000004
	ds_read_b32 v70, v4 offset:2144                            // 00000000889C: D86C0860 46000004
	ds_read_b32 v71, v4 offset:6496                            // 0000000088A4: D86C1960 47000004
	ds_read_b32 v72, v4 offset:10752                           // 0000000088AC: D86C2A00 48000004
	ds_read_b32 v73, v4 offset:15104                           // 0000000088B4: D86C3B00 49000004
	ds_read_b32 v74, v4 offset:10784                           // 0000000088BC: D86C2A20 4A000004
	ds_read_b32 v75, v4 offset:15136                           // 0000000088C4: D86C3B20 4B000004
	ds_read_b32 v76, v4 offset:10816                           // 0000000088CC: D86C2A40 4C000004
	ds_read_b32 v77, v4 offset:15168                           // 0000000088D4: D86C3B40 4D000004
	ds_read_b32 v78, v4 offset:10848                           // 0000000088DC: D86C2A60 4E000004
	ds_read_b32 v79, v4 offset:15200                           // 0000000088E4: D86C3B60 4F000004
	s_waitcnt lgkmcnt(0)                                       // 0000000088EC: BF8CC07F
	s_mov_b64 exec, s[20:21]                                   // 0000000088F0: BEFE0114
	global_atomic_pk_add_bf16 v80, v64, s[8:9]                 // 0000000088F4: DD488000 00084050
	s_mov_b64 exec, s[36:37]                                   // 0000000088FC: BEFE0124
	s_mov_b64 exec, s[20:21]                                   // 000000008900: BEFE0114
	global_atomic_pk_add_bf16 v80, v65, s[8:9] offset:256      // 000000008904: DD488100 00084150
	s_mov_b64 exec, s[36:37]                                   // 00000000890C: BEFE0124
	s_mov_b64 exec, s[22:23]                                   // 000000008910: BEFE0116
	global_atomic_pk_add_bf16 v82, v66, s[8:9]                 // 000000008914: DD488000 00084252
	s_mov_b64 exec, s[36:37]                                   // 00000000891C: BEFE0124
	s_mov_b64 exec, s[22:23]                                   // 000000008920: BEFE0116
	global_atomic_pk_add_bf16 v82, v67, s[8:9] offset:256      // 000000008924: DD488100 00084352
	s_mov_b64 exec, s[36:37]                                   // 00000000892C: BEFE0124
	s_mov_b64 exec, s[24:25]                                   // 000000008930: BEFE0118
	global_atomic_pk_add_bf16 v84, v68, s[8:9]                 // 000000008934: DD488000 00084454
	s_mov_b64 exec, s[36:37]                                   // 00000000893C: BEFE0124
	s_mov_b64 exec, s[24:25]                                   // 000000008940: BEFE0118
	global_atomic_pk_add_bf16 v84, v69, s[8:9] offset:256      // 000000008944: DD488100 00084554
	s_mov_b64 exec, s[36:37]                                   // 00000000894C: BEFE0124
	s_mov_b64 exec, s[26:27]                                   // 000000008950: BEFE011A
	global_atomic_pk_add_bf16 v86, v70, s[8:9]                 // 000000008954: DD488000 00084656
	s_mov_b64 exec, s[36:37]                                   // 00000000895C: BEFE0124
	s_mov_b64 exec, s[26:27]                                   // 000000008960: BEFE011A
	global_atomic_pk_add_bf16 v86, v71, s[8:9] offset:256      // 000000008964: DD488100 00084756
	s_mov_b64 exec, s[36:37]                                   // 00000000896C: BEFE0124
	s_mov_b64 exec, s[28:29]                                   // 000000008970: BEFE011C
	global_atomic_pk_add_bf16 v88, v72, s[8:9]                 // 000000008974: DD488000 00084858
	s_mov_b64 exec, s[36:37]                                   // 00000000897C: BEFE0124
	s_mov_b64 exec, s[28:29]                                   // 000000008980: BEFE011C
	global_atomic_pk_add_bf16 v88, v73, s[8:9] offset:256      // 000000008984: DD488100 00084958
	s_mov_b64 exec, s[36:37]                                   // 00000000898C: BEFE0124
	s_mov_b64 exec, s[30:31]                                   // 000000008990: BEFE011E
	global_atomic_pk_add_bf16 v90, v74, s[8:9]                 // 000000008994: DD488000 00084A5A
	s_mov_b64 exec, s[36:37]                                   // 00000000899C: BEFE0124
	s_mov_b64 exec, s[30:31]                                   // 0000000089A0: BEFE011E
	global_atomic_pk_add_bf16 v90, v75, s[8:9] offset:256      // 0000000089A4: DD488100 00084B5A
	s_mov_b64 exec, s[36:37]                                   // 0000000089AC: BEFE0124
	s_mov_b64 exec, s[32:33]                                   // 0000000089B0: BEFE0120
	global_atomic_pk_add_bf16 v92, v76, s[8:9]                 // 0000000089B4: DD488000 00084C5C
	s_mov_b64 exec, s[36:37]                                   // 0000000089BC: BEFE0124
	s_mov_b64 exec, s[32:33]                                   // 0000000089C0: BEFE0120
	global_atomic_pk_add_bf16 v92, v77, s[8:9] offset:256      // 0000000089C4: DD488100 00084D5C
	s_mov_b64 exec, s[36:37]                                   // 0000000089CC: BEFE0124
	s_mov_b64 exec, s[34:35]                                   // 0000000089D0: BEFE0122
	global_atomic_pk_add_bf16 v94, v78, s[8:9]                 // 0000000089D4: DD488000 00084E5E
	s_mov_b64 exec, s[36:37]                                   // 0000000089DC: BEFE0124
	s_mov_b64 exec, s[34:35]                                   // 0000000089E0: BEFE0122
	global_atomic_pk_add_bf16 v94, v79, s[8:9] offset:256      // 0000000089E4: DD488100 00084F5E
	s_mov_b64 exec, s[36:37]                                   // 0000000089EC: BEFE0124
	s_add_u32 s8, s59, s8                                      // 0000000089F0: 8008083B
	s_addc_u32 s9, 0, s9                                       // 0000000089F4: 82090980
	s_addk_i32 s80, 0x100                                      // 0000000089F8: B7500100
	s_cmp_lt_i32 s80, s81                                      // 0000000089FC: BF045150
	s_cbranch_scc0 label_1B05                                  // 000000008A00: BF840344
	s_waitcnt vmcnt(45)                                        // 000000008A04: BF8C8F7D
	s_barrier                                                  // 000000008A08: BF8A0000
	v_mfma_f32_16x16x32_fp8_fp8 v[224:227], a[128:129], v[128:129], 0// 000000008A0C: D3F300E0 0A030180
	v_mfma_f32_16x16x32_fp8_fp8 v[224:227], a[130:131], v[130:131], v[224:227]// 000000008A14: D3F300E0 0F830582
	buffer_load_dwordx4 a[0:3], v48, s[12:15], 0 offen         // 000000008A1C: E05C1000 80830030
	v_mfma_f32_16x16x32_fp8_fp8 v[228:231], a[128:129], v[160:161], 0// 000000008A24: D3F300E4 0A034180
	v_mfma_f32_16x16x32_fp8_fp8 v[228:231], a[130:131], v[162:163], v[228:231]// 000000008A2C: D3F300E4 0F934582
	v_mfma_f32_16x16x32_fp8_fp8 v[232:235], a[132:133], v[128:129], 0// 000000008A34: D3F300E8 0A030184
	v_mfma_f32_16x16x32_fp8_fp8 v[232:235], a[134:135], v[130:131], v[232:235]// 000000008A3C: D3F300E8 0FA30586
	buffer_load_dwordx4 a[4:7], v49, s[12:15], 0 offen         // 000000008A44: E05C1000 80830431
	v_mfma_f32_16x16x32_fp8_fp8 v[236:239], a[132:133], v[160:161], 0// 000000008A4C: D3F300EC 0A034184
	v_mfma_f32_16x16x32_fp8_fp8 v[236:239], a[134:135], v[162:163], v[236:239]// 000000008A54: D3F300EC 0FB34586
	v_mfma_f32_16x16x32_fp8_fp8 v[240:243], a[136:137], v[128:129], 0// 000000008A5C: D3F300F0 0A030188
	v_mfma_f32_16x16x32_fp8_fp8 v[240:243], a[138:139], v[130:131], v[240:243]// 000000008A64: D3F300F0 0FC3058A
	buffer_load_dwordx4 a[8:11], v50, s[12:15], 0 offen        // 000000008A6C: E05C1000 80830832
	v_mfma_f32_16x16x32_fp8_fp8 v[244:247], a[136:137], v[160:161], 0// 000000008A74: D3F300F4 0A034188
	v_mfma_f32_16x16x32_fp8_fp8 v[244:247], a[138:139], v[162:163], v[244:247]// 000000008A7C: D3F300F4 0FD3458A
	v_mfma_f32_16x16x32_fp8_fp8 v[248:251], a[140:141], v[128:129], 0// 000000008A84: D3F300F8 0A03018C
	v_mfma_f32_16x16x32_fp8_fp8 v[248:251], a[142:143], v[130:131], v[248:251]// 000000008A8C: D3F300F8 0FE3058E
	buffer_load_dwordx4 a[12:15], v51, s[12:15], 0 offen       // 000000008A94: E05C1000 80830C33
	s_add_u32 s12, s78, s12                                    // 000000008A9C: 800C0C4E
	s_addc_u32 s13, 0, s13                                     // 000000008AA0: 820D0D80
	v_mfma_f32_16x16x32_fp8_fp8 v[252:255], a[140:141], v[160:161], 0// 000000008AA4: D3F300FC 0A03418C
	v_mfma_f32_16x16x32_fp8_fp8 v[252:255], a[142:143], v[162:163], v[252:255]// 000000008AAC: D3F300FC 0FF3458E
	s_waitcnt vmcnt(45)                                        // 000000008AB4: BF8C8F7D
	v_mfma_f32_16x16x32_fp8_fp8 v[224:227], a[144:145], v[132:133], v[224:227]// 000000008AB8: D3F300E0 0F830990
	v_mfma_f32_16x16x32_fp8_fp8 v[224:227], a[146:147], v[134:135], v[224:227]// 000000008AC0: D3F300E0 0F830D92
	buffer_load_dwordx4 a[16:19], v48, s[12:15], 0 offen       // 000000008AC8: E05C1000 80831030
	v_mfma_f32_16x16x32_fp8_fp8 v[228:231], a[144:145], v[164:165], v[228:231]// 000000008AD0: D3F300E4 0F934990
	v_mfma_f32_16x16x32_fp8_fp8 v[228:231], a[146:147], v[166:167], v[228:231]// 000000008AD8: D3F300E4 0F934D92
	v_mfma_f32_16x16x32_fp8_fp8 v[232:235], a[148:149], v[132:133], v[232:235]// 000000008AE0: D3F300E8 0FA30994
	v_mfma_f32_16x16x32_fp8_fp8 v[232:235], a[150:151], v[134:135], v[232:235]// 000000008AE8: D3F300E8 0FA30D96
	buffer_load_dwordx4 a[20:23], v49, s[12:15], 0 offen       // 000000008AF0: E05C1000 80831431
	v_mfma_f32_16x16x32_fp8_fp8 v[236:239], a[148:149], v[164:165], v[236:239]// 000000008AF8: D3F300EC 0FB34994
	v_mfma_f32_16x16x32_fp8_fp8 v[236:239], a[150:151], v[166:167], v[236:239]// 000000008B00: D3F300EC 0FB34D96
	v_mfma_f32_16x16x32_fp8_fp8 v[240:243], a[152:153], v[132:133], v[240:243]// 000000008B08: D3F300F0 0FC30998
	v_mfma_f32_16x16x32_fp8_fp8 v[240:243], a[154:155], v[134:135], v[240:243]// 000000008B10: D3F300F0 0FC30D9A
	buffer_load_dwordx4 a[24:27], v50, s[12:15], 0 offen       // 000000008B18: E05C1000 80831832
	v_mfma_f32_16x16x32_fp8_fp8 v[244:247], a[152:153], v[164:165], v[244:247]// 000000008B20: D3F300F4 0FD34998
	v_mfma_f32_16x16x32_fp8_fp8 v[244:247], a[154:155], v[166:167], v[244:247]// 000000008B28: D3F300F4 0FD34D9A
	v_mfma_f32_16x16x32_fp8_fp8 v[248:251], a[156:157], v[132:133], v[248:251]// 000000008B30: D3F300F8 0FE3099C
	v_mfma_f32_16x16x32_fp8_fp8 v[248:251], a[158:159], v[134:135], v[248:251]// 000000008B38: D3F300F8 0FE30D9E
	buffer_load_dwordx4 a[28:31], v51, s[12:15], 0 offen       // 000000008B40: E05C1000 80831C33
	s_add_u32 s12, s78, s12                                    // 000000008B48: 800C0C4E
	s_addc_u32 s13, 0, s13                                     // 000000008B4C: 820D0D80
	v_mfma_f32_16x16x32_fp8_fp8 v[252:255], a[156:157], v[164:165], v[252:255]// 000000008B50: D3F300FC 0FF3499C
	v_mfma_f32_16x16x32_fp8_fp8 v[252:255], a[158:159], v[166:167], v[252:255]// 000000008B58: D3F300FC 0FF34D9E
	s_waitcnt vmcnt(45)                                        // 000000008B60: BF8C8F7D
	v_mfma_f32_16x16x32_fp8_fp8 v[224:227], a[160:161], v[136:137], v[224:227]// 000000008B64: D3F300E0 0F8311A0
	v_mfma_f32_16x16x32_fp8_fp8 v[224:227], a[162:163], v[138:139], v[224:227]// 000000008B6C: D3F300E0 0F8315A2
	buffer_load_dwordx4 a[32:35], v48, s[12:15], 0 offen       // 000000008B74: E05C1000 80832030
	v_mfma_f32_16x16x32_fp8_fp8 v[228:231], a[160:161], v[168:169], v[228:231]// 000000008B7C: D3F300E4 0F9351A0
	v_mfma_f32_16x16x32_fp8_fp8 v[228:231], a[162:163], v[170:171], v[228:231]// 000000008B84: D3F300E4 0F9355A2
	v_mfma_f32_16x16x32_fp8_fp8 v[232:235], a[164:165], v[136:137], v[232:235]// 000000008B8C: D3F300E8 0FA311A4
	v_mfma_f32_16x16x32_fp8_fp8 v[232:235], a[166:167], v[138:139], v[232:235]// 000000008B94: D3F300E8 0FA315A6
	buffer_load_dwordx4 a[36:39], v49, s[12:15], 0 offen       // 000000008B9C: E05C1000 80832431
	v_mfma_f32_16x16x32_fp8_fp8 v[236:239], a[164:165], v[168:169], v[236:239]// 000000008BA4: D3F300EC 0FB351A4
	v_mfma_f32_16x16x32_fp8_fp8 v[236:239], a[166:167], v[170:171], v[236:239]// 000000008BAC: D3F300EC 0FB355A6
	v_mfma_f32_16x16x32_fp8_fp8 v[240:243], a[168:169], v[136:137], v[240:243]// 000000008BB4: D3F300F0 0FC311A8
	v_mfma_f32_16x16x32_fp8_fp8 v[240:243], a[170:171], v[138:139], v[240:243]// 000000008BBC: D3F300F0 0FC315AA
	buffer_load_dwordx4 a[40:43], v50, s[12:15], 0 offen       // 000000008BC4: E05C1000 80832832
	v_mfma_f32_16x16x32_fp8_fp8 v[244:247], a[168:169], v[168:169], v[244:247]// 000000008BCC: D3F300F4 0FD351A8
	v_mfma_f32_16x16x32_fp8_fp8 v[244:247], a[170:171], v[170:171], v[244:247]// 000000008BD4: D3F300F4 0FD355AA
	v_mfma_f32_16x16x32_fp8_fp8 v[248:251], a[172:173], v[136:137], v[248:251]// 000000008BDC: D3F300F8 0FE311AC
	v_mfma_f32_16x16x32_fp8_fp8 v[248:251], a[174:175], v[138:139], v[248:251]// 000000008BE4: D3F300F8 0FE315AE
	buffer_load_dwordx4 a[44:47], v51, s[12:15], 0 offen       // 000000008BEC: E05C1000 80832C33
	s_add_u32 s12, s78, s12                                    // 000000008BF4: 800C0C4E
	s_addc_u32 s13, 0, s13                                     // 000000008BF8: 820D0D80
	v_mfma_f32_16x16x32_fp8_fp8 v[252:255], a[172:173], v[168:169], v[252:255]// 000000008BFC: D3F300FC 0FF351AC
	v_mfma_f32_16x16x32_fp8_fp8 v[252:255], a[174:175], v[170:171], v[252:255]// 000000008C04: D3F300FC 0FF355AE
	s_waitcnt vmcnt(45)                                        // 000000008C0C: BF8C8F7D
	v_mfma_f32_16x16x32_fp8_fp8 v[224:227], a[176:177], v[140:141], v[224:227]// 000000008C10: D3F300E0 0F8319B0
	v_mfma_f32_16x16x32_fp8_fp8 v[224:227], a[178:179], v[142:143], v[224:227]// 000000008C18: D3F300E0 0F831DB2
	buffer_load_dwordx4 a[48:51], v48, s[12:15], 0 offen       // 000000008C20: E05C1000 80833030
	v_mfma_f32_16x16x32_fp8_fp8 v[228:231], a[176:177], v[172:173], v[228:231]// 000000008C28: D3F300E4 0F9359B0
	v_mfma_f32_16x16x32_fp8_fp8 v[228:231], a[178:179], v[174:175], v[228:231]// 000000008C30: D3F300E4 0F935DB2
	v_mfma_f32_16x16x32_fp8_fp8 v[232:235], a[180:181], v[140:141], v[232:235]// 000000008C38: D3F300E8 0FA319B4
	v_mfma_f32_16x16x32_fp8_fp8 v[232:235], a[182:183], v[142:143], v[232:235]// 000000008C40: D3F300E8 0FA31DB6
	buffer_load_dwordx4 a[52:55], v49, s[12:15], 0 offen       // 000000008C48: E05C1000 80833431
	v_mfma_f32_16x16x32_fp8_fp8 v[236:239], a[180:181], v[172:173], v[236:239]// 000000008C50: D3F300EC 0FB359B4
	v_mfma_f32_16x16x32_fp8_fp8 v[236:239], a[182:183], v[174:175], v[236:239]// 000000008C58: D3F300EC 0FB35DB6
	v_mfma_f32_16x16x32_fp8_fp8 v[240:243], a[184:185], v[140:141], v[240:243]// 000000008C60: D3F300F0 0FC319B8
	v_mfma_f32_16x16x32_fp8_fp8 v[240:243], a[186:187], v[142:143], v[240:243]// 000000008C68: D3F300F0 0FC31DBA
	buffer_load_dwordx4 a[56:59], v50, s[12:15], 0 offen       // 000000008C70: E05C1000 80833832
	v_mfma_f32_16x16x32_fp8_fp8 v[244:247], a[184:185], v[172:173], v[244:247]// 000000008C78: D3F300F4 0FD359B8
	v_mfma_f32_16x16x32_fp8_fp8 v[244:247], a[186:187], v[174:175], v[244:247]// 000000008C80: D3F300F4 0FD35DBA
	v_mfma_f32_16x16x32_fp8_fp8 v[248:251], a[188:189], v[140:141], v[248:251]// 000000008C88: D3F300F8 0FE319BC
	v_mfma_f32_16x16x32_fp8_fp8 v[248:251], a[190:191], v[142:143], v[248:251]// 000000008C90: D3F300F8 0FE31DBE
	buffer_load_dwordx4 a[60:63], v51, s[12:15], 0 offen       // 000000008C98: E05C1000 80833C33
	s_add_u32 s12, s78, s12                                    // 000000008CA0: 800C0C4E
	s_addc_u32 s13, 0, s13                                     // 000000008CA4: 820D0D80
	v_mfma_f32_16x16x32_fp8_fp8 v[252:255], a[188:189], v[172:173], v[252:255]// 000000008CA8: D3F300FC 0FF359BC
	v_mfma_f32_16x16x32_fp8_fp8 v[252:255], a[190:191], v[174:175], v[252:255]// 000000008CB0: D3F300FC 0FF35DBE
	s_waitcnt vmcnt(45)                                        // 000000008CB8: BF8C8F7D
	v_mfma_f32_16x16x32_fp8_fp8 v[224:227], a[192:193], v[144:145], v[224:227]// 000000008CBC: D3F300E0 0F8321C0
	v_mfma_f32_16x16x32_fp8_fp8 v[224:227], a[194:195], v[146:147], v[224:227]// 000000008CC4: D3F300E0 0F8325C2
	buffer_load_dwordx4 a[64:67], v48, s[12:15], 0 offen       // 000000008CCC: E05C1000 80834030
	v_mfma_f32_16x16x32_fp8_fp8 v[228:231], a[192:193], v[176:177], v[228:231]// 000000008CD4: D3F300E4 0F9361C0
	v_mfma_f32_16x16x32_fp8_fp8 v[228:231], a[194:195], v[178:179], v[228:231]// 000000008CDC: D3F300E4 0F9365C2
	v_mfma_f32_16x16x32_fp8_fp8 v[232:235], a[196:197], v[144:145], v[232:235]// 000000008CE4: D3F300E8 0FA321C4
	v_mfma_f32_16x16x32_fp8_fp8 v[232:235], a[198:199], v[146:147], v[232:235]// 000000008CEC: D3F300E8 0FA325C6
	buffer_load_dwordx4 a[68:71], v49, s[12:15], 0 offen       // 000000008CF4: E05C1000 80834431
	v_mfma_f32_16x16x32_fp8_fp8 v[236:239], a[196:197], v[176:177], v[236:239]// 000000008CFC: D3F300EC 0FB361C4
	v_mfma_f32_16x16x32_fp8_fp8 v[236:239], a[198:199], v[178:179], v[236:239]// 000000008D04: D3F300EC 0FB365C6
	v_mfma_f32_16x16x32_fp8_fp8 v[240:243], a[200:201], v[144:145], v[240:243]// 000000008D0C: D3F300F0 0FC321C8
	v_mfma_f32_16x16x32_fp8_fp8 v[240:243], a[202:203], v[146:147], v[240:243]// 000000008D14: D3F300F0 0FC325CA
	buffer_load_dwordx4 a[72:75], v50, s[12:15], 0 offen       // 000000008D1C: E05C1000 80834832
	v_mfma_f32_16x16x32_fp8_fp8 v[244:247], a[200:201], v[176:177], v[244:247]// 000000008D24: D3F300F4 0FD361C8
	v_mfma_f32_16x16x32_fp8_fp8 v[244:247], a[202:203], v[178:179], v[244:247]// 000000008D2C: D3F300F4 0FD365CA
	v_mfma_f32_16x16x32_fp8_fp8 v[248:251], a[204:205], v[144:145], v[248:251]// 000000008D34: D3F300F8 0FE321CC
	v_mfma_f32_16x16x32_fp8_fp8 v[248:251], a[206:207], v[146:147], v[248:251]// 000000008D3C: D3F300F8 0FE325CE
	buffer_load_dwordx4 a[76:79], v51, s[12:15], 0 offen       // 000000008D44: E05C1000 80834C33
	s_add_u32 s12, s78, s12                                    // 000000008D4C: 800C0C4E
	s_addc_u32 s13, 0, s13                                     // 000000008D50: 820D0D80
	v_mfma_f32_16x16x32_fp8_fp8 v[252:255], a[204:205], v[176:177], v[252:255]// 000000008D54: D3F300FC 0FF361CC
	v_mfma_f32_16x16x32_fp8_fp8 v[252:255], a[206:207], v[178:179], v[252:255]// 000000008D5C: D3F300FC 0FF365CE
	s_waitcnt vmcnt(45)                                        // 000000008D64: BF8C8F7D
	v_mfma_f32_16x16x32_fp8_fp8 v[224:227], a[208:209], v[148:149], v[224:227]// 000000008D68: D3F300E0 0F8329D0
	v_mfma_f32_16x16x32_fp8_fp8 v[224:227], a[210:211], v[150:151], v[224:227]// 000000008D70: D3F300E0 0F832DD2
	buffer_load_dwordx4 a[80:83], v48, s[12:15], 0 offen       // 000000008D78: E05C1000 80835030
	v_mfma_f32_16x16x32_fp8_fp8 v[228:231], a[208:209], v[180:181], v[228:231]// 000000008D80: D3F300E4 0F9369D0
	v_mfma_f32_16x16x32_fp8_fp8 v[228:231], a[210:211], v[182:183], v[228:231]// 000000008D88: D3F300E4 0F936DD2
	v_mfma_f32_16x16x32_fp8_fp8 v[232:235], a[212:213], v[148:149], v[232:235]// 000000008D90: D3F300E8 0FA329D4
	v_mfma_f32_16x16x32_fp8_fp8 v[232:235], a[214:215], v[150:151], v[232:235]// 000000008D98: D3F300E8 0FA32DD6
	buffer_load_dwordx4 a[84:87], v49, s[12:15], 0 offen       // 000000008DA0: E05C1000 80835431
	v_mfma_f32_16x16x32_fp8_fp8 v[236:239], a[212:213], v[180:181], v[236:239]// 000000008DA8: D3F300EC 0FB369D4
	v_mfma_f32_16x16x32_fp8_fp8 v[236:239], a[214:215], v[182:183], v[236:239]// 000000008DB0: D3F300EC 0FB36DD6
	v_mfma_f32_16x16x32_fp8_fp8 v[240:243], a[216:217], v[148:149], v[240:243]// 000000008DB8: D3F300F0 0FC329D8
	v_mfma_f32_16x16x32_fp8_fp8 v[240:243], a[218:219], v[150:151], v[240:243]// 000000008DC0: D3F300F0 0FC32DDA
	buffer_load_dwordx4 a[88:91], v50, s[12:15], 0 offen       // 000000008DC8: E05C1000 80835832
	v_mfma_f32_16x16x32_fp8_fp8 v[244:247], a[216:217], v[180:181], v[244:247]// 000000008DD0: D3F300F4 0FD369D8
	v_mfma_f32_16x16x32_fp8_fp8 v[244:247], a[218:219], v[182:183], v[244:247]// 000000008DD8: D3F300F4 0FD36DDA
	v_mfma_f32_16x16x32_fp8_fp8 v[248:251], a[220:221], v[148:149], v[248:251]// 000000008DE0: D3F300F8 0FE329DC
	v_mfma_f32_16x16x32_fp8_fp8 v[248:251], a[222:223], v[150:151], v[248:251]// 000000008DE8: D3F300F8 0FE32DDE
	buffer_load_dwordx4 a[92:95], v51, s[12:15], 0 offen       // 000000008DF0: E05C1000 80835C33
	s_add_u32 s12, s78, s12                                    // 000000008DF8: 800C0C4E
	s_addc_u32 s13, 0, s13                                     // 000000008DFC: 820D0D80
	v_mfma_f32_16x16x32_fp8_fp8 v[252:255], a[220:221], v[180:181], v[252:255]// 000000008E00: D3F300FC 0FF369DC
	v_mfma_f32_16x16x32_fp8_fp8 v[252:255], a[222:223], v[182:183], v[252:255]// 000000008E08: D3F300FC 0FF36DDE
	s_waitcnt vmcnt(45)                                        // 000000008E10: BF8C8F7D
	v_mfma_f32_16x16x32_fp8_fp8 v[224:227], a[224:225], v[152:153], v[224:227]// 000000008E14: D3F300E0 0F8331E0
	v_mfma_f32_16x16x32_fp8_fp8 v[224:227], a[226:227], v[154:155], v[224:227]// 000000008E1C: D3F300E0 0F8335E2
	buffer_load_dwordx4 a[96:99], v48, s[12:15], 0 offen       // 000000008E24: E05C1000 80836030
	v_mfma_f32_16x16x32_fp8_fp8 v[228:231], a[224:225], v[184:185], v[228:231]// 000000008E2C: D3F300E4 0F9371E0
	v_mfma_f32_16x16x32_fp8_fp8 v[228:231], a[226:227], v[186:187], v[228:231]// 000000008E34: D3F300E4 0F9375E2
	v_mfma_f32_16x16x32_fp8_fp8 v[232:235], a[228:229], v[152:153], v[232:235]// 000000008E3C: D3F300E8 0FA331E4
	v_mfma_f32_16x16x32_fp8_fp8 v[232:235], a[230:231], v[154:155], v[232:235]// 000000008E44: D3F300E8 0FA335E6
	buffer_load_dwordx4 a[100:103], v49, s[12:15], 0 offen     // 000000008E4C: E05C1000 80836431
	v_mfma_f32_16x16x32_fp8_fp8 v[236:239], a[228:229], v[184:185], v[236:239]// 000000008E54: D3F300EC 0FB371E4
	v_mfma_f32_16x16x32_fp8_fp8 v[236:239], a[230:231], v[186:187], v[236:239]// 000000008E5C: D3F300EC 0FB375E6
	v_mfma_f32_16x16x32_fp8_fp8 v[240:243], a[232:233], v[152:153], v[240:243]// 000000008E64: D3F300F0 0FC331E8
	v_mfma_f32_16x16x32_fp8_fp8 v[240:243], a[234:235], v[154:155], v[240:243]// 000000008E6C: D3F300F0 0FC335EA
	buffer_load_dwordx4 a[104:107], v50, s[12:15], 0 offen     // 000000008E74: E05C1000 80836832
	v_mfma_f32_16x16x32_fp8_fp8 v[244:247], a[232:233], v[184:185], v[244:247]// 000000008E7C: D3F300F4 0FD371E8
	v_mfma_f32_16x16x32_fp8_fp8 v[244:247], a[234:235], v[186:187], v[244:247]// 000000008E84: D3F300F4 0FD375EA
	v_mfma_f32_16x16x32_fp8_fp8 v[248:251], a[236:237], v[152:153], v[248:251]// 000000008E8C: D3F300F8 0FE331EC
	v_mfma_f32_16x16x32_fp8_fp8 v[248:251], a[238:239], v[154:155], v[248:251]// 000000008E94: D3F300F8 0FE335EE
	buffer_load_dwordx4 a[108:111], v51, s[12:15], 0 offen     // 000000008E9C: E05C1000 80836C33
	s_add_u32 s12, s78, s12                                    // 000000008EA4: 800C0C4E
	s_addc_u32 s13, 0, s13                                     // 000000008EA8: 820D0D80
	v_mfma_f32_16x16x32_fp8_fp8 v[252:255], a[236:237], v[184:185], v[252:255]// 000000008EAC: D3F300FC 0FF371EC
	v_mfma_f32_16x16x32_fp8_fp8 v[252:255], a[238:239], v[186:187], v[252:255]// 000000008EB4: D3F300FC 0FF375EE
	s_waitcnt vmcnt(44)                                        // 000000008EBC: BF8C8F7C
	v_mfma_f32_16x16x32_fp8_fp8 v[224:227], a[240:241], v[156:157], v[224:227]// 000000008EC0: D3F300E0 0F8339F0
	v_mfma_f32_16x16x32_fp8_fp8 v[224:227], a[242:243], v[158:159], v[224:227]// 000000008EC8: D3F300E0 0F833DF2
	buffer_load_dwordx4 a[112:115], v48, s[12:15], 0 offen     // 000000008ED0: E05C1000 80837030
	v_mfma_f32_16x16x32_fp8_fp8 v[228:231], a[240:241], v[188:189], v[228:231]// 000000008ED8: D3F300E4 0F9379F0
	v_mfma_f32_16x16x32_fp8_fp8 v[228:231], a[242:243], v[190:191], v[228:231]// 000000008EE0: D3F300E4 0F937DF2
	buffer_load_dword v12, v5, s[16:19], 0 offen               // 000000008EE8: E0501000 80040C05
	v_mfma_f32_16x16x32_fp8_fp8 v[232:235], a[244:245], v[156:157], v[232:235]// 000000008EF0: D3F300E8 0FA339F4
	v_mfma_f32_16x16x32_fp8_fp8 v[232:235], a[246:247], v[158:159], v[232:235]// 000000008EF8: D3F300E8 0FA33DF6
	buffer_load_dwordx4 a[116:119], v49, s[12:15], 0 offen     // 000000008F00: E05C1000 80837431
	v_mfma_f32_16x16x32_fp8_fp8 v[236:239], a[244:245], v[188:189], v[236:239]// 000000008F08: D3F300EC 0FB379F4
	v_mfma_f32_16x16x32_fp8_fp8 v[236:239], a[246:247], v[190:191], v[236:239]// 000000008F10: D3F300EC 0FB37DF6
	v_mfma_f32_16x16x32_fp8_fp8 v[240:243], a[248:249], v[156:157], v[240:243]// 000000008F18: D3F300F0 0FC339F8
	v_mfma_f32_16x16x32_fp8_fp8 v[240:243], a[250:251], v[158:159], v[240:243]// 000000008F20: D3F300F0 0FC33DFA
	buffer_load_dwordx4 a[120:123], v50, s[12:15], 0 offen     // 000000008F28: E05C1000 80837832
	v_mfma_f32_16x16x32_fp8_fp8 v[244:247], a[248:249], v[188:189], v[244:247]// 000000008F30: D3F300F4 0FD379F8
	v_mfma_f32_16x16x32_fp8_fp8 v[244:247], a[250:251], v[190:191], v[244:247]// 000000008F38: D3F300F4 0FD37DFA
	v_mfma_f32_16x16x32_fp8_fp8 v[248:251], a[252:253], v[156:157], v[248:251]// 000000008F40: D3F300F8 0FE339FC
	v_mfma_f32_16x16x32_fp8_fp8 v[248:251], a[254:255], v[158:159], v[248:251]// 000000008F48: D3F300F8 0FE33DFE
	buffer_load_dwordx4 a[124:127], v51, s[12:15], 0 offen     // 000000008F50: E05C1000 80837C33
	v_mfma_f32_16x16x32_fp8_fp8 v[252:255], a[252:253], v[188:189], v[252:255]// 000000008F58: D3F300FC 0FF379FC
	v_mfma_f32_16x16x32_fp8_fp8 v[252:255], a[254:255], v[190:191], v[252:255]// 000000008F60: D3F300FC 0FF37DFE
	s_add_u32 s60, 0x200, s80                                  // 000000008F68: 803C50FF 00000200
	s_cmp_lt_u32 s60, s81                                      // 000000008F70: BF0A513C
	s_cselect_b32 s56, s56, 0                                  // 000000008F74: 85388038
	s_cselect_b32 s78, s78, 0                                  // 000000008F78: 854E804E
	s_cselect_b32 s79, s79, 0                                  // 000000008F7C: 854F804F
	s_add_u32 s12, s56, s12                                    // 000000008F80: 800C0C38
	s_addc_u32 s13, 0, s13                                     // 000000008F84: 820D0D80
	s_add_u32 s16, s79, s16                                    // 000000008F88: 8010104F
	s_addc_u32 s17, 0, s17                                     // 000000008F8C: 82111180
	v_mov_b32_e32 v44, v24                                     // 000000008F90: 7E580318
	v_mov_b32_e32 v46, v20                                     // 000000008F94: 7E5C0314
	v_mov_b32_e32 v45, v44                                     // 000000008F98: 7E5A032C
	v_mov_b32_e32 v47, v46                                     // 000000008F9C: 7E5E032E
	v_pk_mul_f32 v[224:225], v[44:45], v[224:225]              // 000000008FA0: D3B140E0 1803C12C
	v_pk_mul_f32 v[226:227], v[44:45], v[226:227]              // 000000008FA8: D3B140E2 1803C52C
	v_mul_f32_dpp v224, v13, v224 row_newbcast:0 row_mask:0xf bank_mask:0xf// 000000008FB0: 0BC1C0FA FF01500D
	v_mul_f32_dpp v225, v13, v225 row_newbcast:1 row_mask:0xf bank_mask:0xf// 000000008FB8: 0BC3C2FA FF01510D
	v_mul_f32_dpp v226, v13, v226 row_newbcast:2 row_mask:0xf bank_mask:0xf// 000000008FC0: 0BC5C4FA FF01520D
	v_mul_f32_dpp v227, v13, v227 row_newbcast:3 row_mask:0xf bank_mask:0xf// 000000008FC8: 0BC7C6FA FF01530D
	v_pk_mul_f32 v[224:225], v[46:47], v[224:225]              // 000000008FD0: D3B140E0 1803C12E
	v_pk_mul_f32 v[226:227], v[46:47], v[226:227]              // 000000008FD8: D3B140E2 1803C52E
	v_pk_mul_f32 v[232:233], v[44:45], v[232:233]              // 000000008FE0: D3B140E8 1803D12C
	v_pk_mul_f32 v[234:235], v[44:45], v[234:235]              // 000000008FE8: D3B140EA 1803D52C
	v_mul_f32_dpp v232, v13, v232 row_newbcast:4 row_mask:0xf bank_mask:0xf// 000000008FF0: 0BD1D0FA FF01540D
	v_mul_f32_dpp v233, v13, v233 row_newbcast:5 row_mask:0xf bank_mask:0xf// 000000008FF8: 0BD3D2FA FF01550D
	v_mul_f32_dpp v234, v13, v234 row_newbcast:6 row_mask:0xf bank_mask:0xf// 000000009000: 0BD5D4FA FF01560D
	v_mul_f32_dpp v235, v13, v235 row_newbcast:7 row_mask:0xf bank_mask:0xf// 000000009008: 0BD7D6FA FF01570D
	v_pk_mul_f32 v[232:233], v[46:47], v[232:233]              // 000000009010: D3B140E8 1803D12E
	v_pk_mul_f32 v[234:235], v[46:47], v[234:235]              // 000000009018: D3B140EA 1803D52E
	v_pk_mul_f32 v[240:241], v[44:45], v[240:241]              // 000000009020: D3B140F0 1803E12C
	v_pk_mul_f32 v[242:243], v[44:45], v[242:243]              // 000000009028: D3B140F2 1803E52C
	v_mul_f32_dpp v240, v13, v240 row_newbcast:8 row_mask:0xf bank_mask:0xf// 000000009030: 0BE1E0FA FF01580D
	v_mul_f32_dpp v241, v13, v241 row_newbcast:9 row_mask:0xf bank_mask:0xf// 000000009038: 0BE3E2FA FF01590D
	v_mul_f32_dpp v242, v13, v242 row_newbcast:10 row_mask:0xf bank_mask:0xf// 000000009040: 0BE5E4FA FF015A0D
	v_mul_f32_dpp v243, v13, v243 row_newbcast:11 row_mask:0xf bank_mask:0xf// 000000009048: 0BE7E6FA FF015B0D
	v_pk_mul_f32 v[240:241], v[46:47], v[240:241]              // 000000009050: D3B140F0 1803E12E
	v_pk_mul_f32 v[242:243], v[46:47], v[242:243]              // 000000009058: D3B140F2 1803E52E
	v_pk_mul_f32 v[248:249], v[44:45], v[248:249]              // 000000009060: D3B140F8 1803F12C
	v_pk_mul_f32 v[250:251], v[44:45], v[250:251]              // 000000009068: D3B140FA 1803F52C
	v_mul_f32_dpp v248, v13, v248 row_newbcast:12 row_mask:0xf bank_mask:0xf// 000000009070: 0BF1F0FA FF015C0D
	v_mul_f32_dpp v249, v13, v249 row_newbcast:13 row_mask:0xf bank_mask:0xf// 000000009078: 0BF3F2FA FF015D0D
	v_mul_f32_dpp v250, v13, v250 row_newbcast:14 row_mask:0xf bank_mask:0xf// 000000009080: 0BF5F4FA FF015E0D
	v_mul_f32_dpp v251, v13, v251 row_newbcast:15 row_mask:0xf bank_mask:0xf// 000000009088: 0BF7F6FA FF015F0D
	v_pk_mul_f32 v[248:249], v[46:47], v[248:249]              // 000000009090: D3B140F8 1803F12E
	v_pk_mul_f32 v[250:251], v[46:47], v[250:251]              // 000000009098: D3B140FA 1803F52E
	v_mov_b32_e32 v44, v25                                     // 0000000090A0: 7E580319
	v_mov_b32_e32 v46, v21                                     // 0000000090A4: 7E5C0315
	v_mov_b32_e32 v45, v44                                     // 0000000090A8: 7E5A032C
	v_mov_b32_e32 v47, v46                                     // 0000000090AC: 7E5E032E
	v_pk_mul_f32 v[228:229], v[44:45], v[228:229]              // 0000000090B0: D3B140E4 1803C92C
	v_pk_mul_f32 v[230:231], v[44:45], v[230:231]              // 0000000090B8: D3B140E6 1803CD2C
	v_mul_f32_dpp v228, v13, v228 row_newbcast:0 row_mask:0xf bank_mask:0xf// 0000000090C0: 0BC9C8FA FF01500D
	v_mul_f32_dpp v229, v13, v229 row_newbcast:1 row_mask:0xf bank_mask:0xf// 0000000090C8: 0BCBCAFA FF01510D
	v_mul_f32_dpp v230, v13, v230 row_newbcast:2 row_mask:0xf bank_mask:0xf// 0000000090D0: 0BCDCCFA FF01520D
	v_mul_f32_dpp v231, v13, v231 row_newbcast:3 row_mask:0xf bank_mask:0xf// 0000000090D8: 0BCFCEFA FF01530D
	v_pk_mul_f32 v[228:229], v[46:47], v[228:229]              // 0000000090E0: D3B140E4 1803C92E
	v_pk_mul_f32 v[230:231], v[46:47], v[230:231]              // 0000000090E8: D3B140E6 1803CD2E
	v_pk_mul_f32 v[236:237], v[44:45], v[236:237]              // 0000000090F0: D3B140EC 1803D92C
	v_pk_mul_f32 v[238:239], v[44:45], v[238:239]              // 0000000090F8: D3B140EE 1803DD2C
	v_mul_f32_dpp v236, v13, v236 row_newbcast:4 row_mask:0xf bank_mask:0xf// 000000009100: 0BD9D8FA FF01540D
	v_mul_f32_dpp v237, v13, v237 row_newbcast:5 row_mask:0xf bank_mask:0xf// 000000009108: 0BDBDAFA FF01550D
	v_mul_f32_dpp v238, v13, v238 row_newbcast:6 row_mask:0xf bank_mask:0xf// 000000009110: 0BDDDCFA FF01560D
	v_mul_f32_dpp v239, v13, v239 row_newbcast:7 row_mask:0xf bank_mask:0xf// 000000009118: 0BDFDEFA FF01570D
	v_pk_mul_f32 v[236:237], v[46:47], v[236:237]              // 000000009120: D3B140EC 1803D92E
	v_pk_mul_f32 v[238:239], v[46:47], v[238:239]              // 000000009128: D3B140EE 1803DD2E
	v_pk_mul_f32 v[244:245], v[44:45], v[244:245]              // 000000009130: D3B140F4 1803E92C
	v_pk_mul_f32 v[246:247], v[44:45], v[246:247]              // 000000009138: D3B140F6 1803ED2C
	v_mul_f32_dpp v244, v13, v244 row_newbcast:8 row_mask:0xf bank_mask:0xf// 000000009140: 0BE9E8FA FF01580D
	v_mul_f32_dpp v245, v13, v245 row_newbcast:9 row_mask:0xf bank_mask:0xf// 000000009148: 0BEBEAFA FF01590D
	v_mul_f32_dpp v246, v13, v246 row_newbcast:10 row_mask:0xf bank_mask:0xf// 000000009150: 0BEDECFA FF015A0D
	v_mul_f32_dpp v247, v13, v247 row_newbcast:11 row_mask:0xf bank_mask:0xf// 000000009158: 0BEFEEFA FF015B0D
	v_pk_mul_f32 v[244:245], v[46:47], v[244:245]              // 000000009160: D3B140F4 1803E92E
	v_pk_mul_f32 v[246:247], v[46:47], v[246:247]              // 000000009168: D3B140F6 1803ED2E
	v_pk_mul_f32 v[252:253], v[44:45], v[252:253]              // 000000009170: D3B140FC 1803F92C
	v_pk_mul_f32 v[254:255], v[44:45], v[254:255]              // 000000009178: D3B140FE 1803FD2C
	v_mul_f32_dpp v252, v13, v252 row_newbcast:12 row_mask:0xf bank_mask:0xf// 000000009180: 0BF9F8FA FF015C0D
	v_mul_f32_dpp v253, v13, v253 row_newbcast:13 row_mask:0xf bank_mask:0xf// 000000009188: 0BFBFAFA FF015D0D
	v_mul_f32_dpp v254, v13, v254 row_newbcast:14 row_mask:0xf bank_mask:0xf// 000000009190: 0BFDFCFA FF015E0D
	v_mul_f32_dpp v255, v13, v255 row_newbcast:15 row_mask:0xf bank_mask:0xf// 000000009198: 0BFFFEFA FF015F0D
	v_pk_mul_f32 v[252:253], v[46:47], v[252:253]              // 0000000091A0: D3B140FC 1803F92E
	v_pk_mul_f32 v[254:255], v[46:47], v[254:255]              // 0000000091A8: D3B140FE 1803FD2E
	v_cmp_u_f32_e64 s[48:49], v224, v224                       // 0000000091B0: D0480030 0003C1E0
	v_add3_u32 v52, v224, v55, 1                               // 0000000091B8: D1FF0034 02066FE0
	v_cndmask_b32_e64 v44, v52, v54, s[48:49]                  // 0000000091C0: D100002C 00C26D34
	v_cmp_u_f32_e64 s[48:49], v225, v225                       // 0000000091C8: D0480030 0003C3E1
	v_add3_u32 v52, v225, v55, 1                               // 0000000091D0: D1FF0034 02066FE1
	v_cndmask_b32_e64 v45, v52, v54, s[48:49]                  // 0000000091D8: D100002D 00C26D34
	v_perm_b32 v224, v45, v44, s52                             // 0000000091E0: D1ED00E0 00D2592D
	v_cmp_u_f32_e64 s[48:49], v226, v226                       // 0000000091E8: D0480030 0003C5E2
	v_add3_u32 v52, v226, v55, 1                               // 0000000091F0: D1FF0034 02066FE2
	v_cndmask_b32_e64 v44, v52, v54, s[48:49]                  // 0000000091F8: D100002C 00C26D34
	v_cmp_u_f32_e64 s[48:49], v227, v227                       // 000000009200: D0480030 0003C7E3
	v_add3_u32 v52, v227, v55, 1                               // 000000009208: D1FF0034 02066FE3
	v_cndmask_b32_e64 v45, v52, v54, s[48:49]                  // 000000009210: D100002D 00C26D34
	v_perm_b32 v225, v45, v44, s52                             // 000000009218: D1ED00E1 00D2592D
	v_cmp_u_f32_e64 s[48:49], v228, v228                       // 000000009220: D0480030 0003C9E4
	v_add3_u32 v52, v228, v55, 1                               // 000000009228: D1FF0034 02066FE4
	v_cndmask_b32_e64 v44, v52, v54, s[48:49]                  // 000000009230: D100002C 00C26D34
	v_cmp_u_f32_e64 s[48:49], v229, v229                       // 000000009238: D0480030 0003CBE5
	v_add3_u32 v52, v229, v55, 1                               // 000000009240: D1FF0034 02066FE5
	v_cndmask_b32_e64 v45, v52, v54, s[48:49]                  // 000000009248: D100002D 00C26D34
	v_perm_b32 v226, v45, v44, s52                             // 000000009250: D1ED00E2 00D2592D
	v_cmp_u_f32_e64 s[48:49], v230, v230                       // 000000009258: D0480030 0003CDE6
	v_add3_u32 v52, v230, v55, 1                               // 000000009260: D1FF0034 02066FE6
	v_cndmask_b32_e64 v44, v52, v54, s[48:49]                  // 000000009268: D100002C 00C26D34
	v_cmp_u_f32_e64 s[48:49], v231, v231                       // 000000009270: D0480030 0003CFE7
	v_add3_u32 v52, v231, v55, 1                               // 000000009278: D1FF0034 02066FE7
	v_cndmask_b32_e64 v45, v52, v54, s[48:49]                  // 000000009280: D100002D 00C26D34
	v_perm_b32 v227, v45, v44, s52                             // 000000009288: D1ED00E3 00D2592D
	v_cmp_u_f32_e64 s[48:49], v232, v232                       // 000000009290: D0480030 0003D1E8
	v_add3_u32 v52, v232, v55, 1                               // 000000009298: D1FF0034 02066FE8
	v_cndmask_b32_e64 v44, v52, v54, s[48:49]                  // 0000000092A0: D100002C 00C26D34
	v_cmp_u_f32_e64 s[48:49], v233, v233                       // 0000000092A8: D0480030 0003D3E9
	v_add3_u32 v52, v233, v55, 1                               // 0000000092B0: D1FF0034 02066FE9
	v_cndmask_b32_e64 v45, v52, v54, s[48:49]                  // 0000000092B8: D100002D 00C26D34
	v_perm_b32 v228, v45, v44, s52                             // 0000000092C0: D1ED00E4 00D2592D
	v_cmp_u_f32_e64 s[48:49], v234, v234                       // 0000000092C8: D0480030 0003D5EA
	v_add3_u32 v52, v234, v55, 1                               // 0000000092D0: D1FF0034 02066FEA
	v_cndmask_b32_e64 v44, v52, v54, s[48:49]                  // 0000000092D8: D100002C 00C26D34
	v_cmp_u_f32_e64 s[48:49], v235, v235                       // 0000000092E0: D0480030 0003D7EB
	v_add3_u32 v52, v235, v55, 1                               // 0000000092E8: D1FF0034 02066FEB
	v_cndmask_b32_e64 v45, v52, v54, s[48:49]                  // 0000000092F0: D100002D 00C26D34
	v_perm_b32 v229, v45, v44, s52                             // 0000000092F8: D1ED00E5 00D2592D
	v_cmp_u_f32_e64 s[48:49], v236, v236                       // 000000009300: D0480030 0003D9EC
	v_add3_u32 v52, v236, v55, 1                               // 000000009308: D1FF0034 02066FEC
	v_cndmask_b32_e64 v44, v52, v54, s[48:49]                  // 000000009310: D100002C 00C26D34
	v_cmp_u_f32_e64 s[48:49], v237, v237                       // 000000009318: D0480030 0003DBED
	v_add3_u32 v52, v237, v55, 1                               // 000000009320: D1FF0034 02066FED
	v_cndmask_b32_e64 v45, v52, v54, s[48:49]                  // 000000009328: D100002D 00C26D34
	v_perm_b32 v230, v45, v44, s52                             // 000000009330: D1ED00E6 00D2592D
	v_cmp_u_f32_e64 s[48:49], v238, v238                       // 000000009338: D0480030 0003DDEE
	v_add3_u32 v52, v238, v55, 1                               // 000000009340: D1FF0034 02066FEE
	v_cndmask_b32_e64 v44, v52, v54, s[48:49]                  // 000000009348: D100002C 00C26D34
	v_cmp_u_f32_e64 s[48:49], v239, v239                       // 000000009350: D0480030 0003DFEF
	v_add3_u32 v52, v239, v55, 1                               // 000000009358: D1FF0034 02066FEF
	v_cndmask_b32_e64 v45, v52, v54, s[48:49]                  // 000000009360: D100002D 00C26D34
	v_perm_b32 v231, v45, v44, s52                             // 000000009368: D1ED00E7 00D2592D
	v_cmp_u_f32_e64 s[48:49], v240, v240                       // 000000009370: D0480030 0003E1F0
	v_add3_u32 v52, v240, v55, 1                               // 000000009378: D1FF0034 02066FF0
	v_cndmask_b32_e64 v44, v52, v54, s[48:49]                  // 000000009380: D100002C 00C26D34
	v_cmp_u_f32_e64 s[48:49], v241, v241                       // 000000009388: D0480030 0003E3F1
	v_add3_u32 v52, v241, v55, 1                               // 000000009390: D1FF0034 02066FF1
	v_cndmask_b32_e64 v45, v52, v54, s[48:49]                  // 000000009398: D100002D 00C26D34
	v_perm_b32 v232, v45, v44, s52                             // 0000000093A0: D1ED00E8 00D2592D
	v_cmp_u_f32_e64 s[48:49], v242, v242                       // 0000000093A8: D0480030 0003E5F2
	v_add3_u32 v52, v242, v55, 1                               // 0000000093B0: D1FF0034 02066FF2
	v_cndmask_b32_e64 v44, v52, v54, s[48:49]                  // 0000000093B8: D100002C 00C26D34
	v_cmp_u_f32_e64 s[48:49], v243, v243                       // 0000000093C0: D0480030 0003E7F3
	v_add3_u32 v52, v243, v55, 1                               // 0000000093C8: D1FF0034 02066FF3
	v_cndmask_b32_e64 v45, v52, v54, s[48:49]                  // 0000000093D0: D100002D 00C26D34
	v_perm_b32 v233, v45, v44, s52                             // 0000000093D8: D1ED00E9 00D2592D
	v_cmp_u_f32_e64 s[48:49], v244, v244                       // 0000000093E0: D0480030 0003E9F4
	v_add3_u32 v52, v244, v55, 1                               // 0000000093E8: D1FF0034 02066FF4
	v_cndmask_b32_e64 v44, v52, v54, s[48:49]                  // 0000000093F0: D100002C 00C26D34
	v_cmp_u_f32_e64 s[48:49], v245, v245                       // 0000000093F8: D0480030 0003EBF5
	v_add3_u32 v52, v245, v55, 1                               // 000000009400: D1FF0034 02066FF5
	v_cndmask_b32_e64 v45, v52, v54, s[48:49]                  // 000000009408: D100002D 00C26D34
	v_perm_b32 v234, v45, v44, s52                             // 000000009410: D1ED00EA 00D2592D
	v_cmp_u_f32_e64 s[48:49], v246, v246                       // 000000009418: D0480030 0003EDF6
	v_add3_u32 v52, v246, v55, 1                               // 000000009420: D1FF0034 02066FF6
	v_cndmask_b32_e64 v44, v52, v54, s[48:49]                  // 000000009428: D100002C 00C26D34
	v_cmp_u_f32_e64 s[48:49], v247, v247                       // 000000009430: D0480030 0003EFF7
	v_add3_u32 v52, v247, v55, 1                               // 000000009438: D1FF0034 02066FF7
	v_cndmask_b32_e64 v45, v52, v54, s[48:49]                  // 000000009440: D100002D 00C26D34
	v_perm_b32 v235, v45, v44, s52                             // 000000009448: D1ED00EB 00D2592D
	v_cmp_u_f32_e64 s[48:49], v248, v248                       // 000000009450: D0480030 0003F1F8
	v_add3_u32 v52, v248, v55, 1                               // 000000009458: D1FF0034 02066FF8
	v_cndmask_b32_e64 v44, v52, v54, s[48:49]                  // 000000009460: D100002C 00C26D34
	v_cmp_u_f32_e64 s[48:49], v249, v249                       // 000000009468: D0480030 0003F3F9
	v_add3_u32 v52, v249, v55, 1                               // 000000009470: D1FF0034 02066FF9
	v_cndmask_b32_e64 v45, v52, v54, s[48:49]                  // 000000009478: D100002D 00C26D34
	v_perm_b32 v236, v45, v44, s52                             // 000000009480: D1ED00EC 00D2592D
	v_cmp_u_f32_e64 s[48:49], v250, v250                       // 000000009488: D0480030 0003F5FA
	v_add3_u32 v52, v250, v55, 1                               // 000000009490: D1FF0034 02066FFA
	v_cndmask_b32_e64 v44, v52, v54, s[48:49]                  // 000000009498: D100002C 00C26D34
	v_cmp_u_f32_e64 s[48:49], v251, v251                       // 0000000094A0: D0480030 0003F7FB
	v_add3_u32 v52, v251, v55, 1                               // 0000000094A8: D1FF0034 02066FFB
	v_cndmask_b32_e64 v45, v52, v54, s[48:49]                  // 0000000094B0: D100002D 00C26D34
	v_perm_b32 v237, v45, v44, s52                             // 0000000094B8: D1ED00ED 00D2592D
	v_cmp_u_f32_e64 s[48:49], v252, v252                       // 0000000094C0: D0480030 0003F9FC
	v_add3_u32 v52, v252, v55, 1                               // 0000000094C8: D1FF0034 02066FFC
	v_cndmask_b32_e64 v44, v52, v54, s[48:49]                  // 0000000094D0: D100002C 00C26D34
	v_cmp_u_f32_e64 s[48:49], v253, v253                       // 0000000094D8: D0480030 0003FBFD
	v_add3_u32 v52, v253, v55, 1                               // 0000000094E0: D1FF0034 02066FFD
	v_cndmask_b32_e64 v45, v52, v54, s[48:49]                  // 0000000094E8: D100002D 00C26D34
	v_perm_b32 v238, v45, v44, s52                             // 0000000094F0: D1ED00EE 00D2592D
	v_cmp_u_f32_e64 s[48:49], v254, v254                       // 0000000094F8: D0480030 0003FDFE
	v_add3_u32 v52, v254, v55, 1                               // 000000009500: D1FF0034 02066FFE
	v_cndmask_b32_e64 v44, v52, v54, s[48:49]                  // 000000009508: D100002C 00C26D34
	v_cmp_u_f32_e64 s[48:49], v255, v255                       // 000000009510: D0480030 0003FFFF
	v_add3_u32 v52, v255, v55, 1                               // 000000009518: D1FF0034 02066FFF
	v_cndmask_b32_e64 v45, v52, v54, s[48:49]                  // 000000009520: D100002D 00C26D34
	v_perm_b32 v239, v45, v44, s52                             // 000000009528: D1ED00EF 00D2592D
	ds_write_b64 v3, v[224:225] offset:2048                    // 000000009530: D89A0800 0000E003
	ds_write_b64 v3, v[226:227] offset:10752                   // 000000009538: D89A2A00 0000E203
	ds_write_b64 v3, v[228:229] offset:4224                    // 000000009540: D89A1080 0000E403
	ds_write_b64 v3, v[230:231] offset:12928                   // 000000009548: D89A3280 0000E603
	ds_write_b64 v3, v[232:233] offset:6400                    // 000000009550: D89A1900 0000E803
	ds_write_b64 v3, v[234:235] offset:15104                   // 000000009558: D89A3B00 0000EA03
	ds_write_b64 v3, v[236:237] offset:8576                    // 000000009560: D89A2180 0000EC03
	ds_write_b64 v3, v[238:239] offset:17280                   // 000000009568: D89A4380 0000EE03
	s_waitcnt lgkmcnt(0)                                       // 000000009570: BF8CC07F
	s_barrier                                                  // 000000009574: BF8A0000
	ds_read_b32 v64, v4 offset:2048                            // 000000009578: D86C0800 40000004
	ds_read_b32 v65, v4 offset:6400                            // 000000009580: D86C1900 41000004
	ds_read_b32 v66, v4 offset:2080                            // 000000009588: D86C0820 42000004
	ds_read_b32 v67, v4 offset:6432                            // 000000009590: D86C1920 43000004
	ds_read_b32 v68, v4 offset:2112                            // 000000009598: D86C0840 44000004
	ds_read_b32 v69, v4 offset:6464                            // 0000000095A0: D86C1940 45000004
	ds_read_b32 v70, v4 offset:2144                            // 0000000095A8: D86C0860 46000004
	ds_read_b32 v71, v4 offset:6496                            // 0000000095B0: D86C1960 47000004
	ds_read_b32 v72, v4 offset:10752                           // 0000000095B8: D86C2A00 48000004
	ds_read_b32 v73, v4 offset:15104                           // 0000000095C0: D86C3B00 49000004
	ds_read_b32 v74, v4 offset:10784                           // 0000000095C8: D86C2A20 4A000004
	ds_read_b32 v75, v4 offset:15136                           // 0000000095D0: D86C3B20 4B000004
	ds_read_b32 v76, v4 offset:10816                           // 0000000095D8: D86C2A40 4C000004
	ds_read_b32 v77, v4 offset:15168                           // 0000000095E0: D86C3B40 4D000004
	ds_read_b32 v78, v4 offset:10848                           // 0000000095E8: D86C2A60 4E000004
	ds_read_b32 v79, v4 offset:15200                           // 0000000095F0: D86C3B60 4F000004
	s_waitcnt lgkmcnt(0)                                       // 0000000095F8: BF8CC07F
	s_mov_b64 exec, s[20:21]                                   // 0000000095FC: BEFE0114
	global_atomic_pk_add_bf16 v80, v64, s[8:9]                 // 000000009600: DD488000 00084050
	s_mov_b64 exec, s[36:37]                                   // 000000009608: BEFE0124
	s_mov_b64 exec, s[20:21]                                   // 00000000960C: BEFE0114
	global_atomic_pk_add_bf16 v80, v65, s[8:9] offset:256      // 000000009610: DD488100 00084150
	s_mov_b64 exec, s[36:37]                                   // 000000009618: BEFE0124
	s_mov_b64 exec, s[22:23]                                   // 00000000961C: BEFE0116
	global_atomic_pk_add_bf16 v82, v66, s[8:9]                 // 000000009620: DD488000 00084252
	s_mov_b64 exec, s[36:37]                                   // 000000009628: BEFE0124
	s_mov_b64 exec, s[22:23]                                   // 00000000962C: BEFE0116
	global_atomic_pk_add_bf16 v82, v67, s[8:9] offset:256      // 000000009630: DD488100 00084352
	s_mov_b64 exec, s[36:37]                                   // 000000009638: BEFE0124
	s_mov_b64 exec, s[24:25]                                   // 00000000963C: BEFE0118
	global_atomic_pk_add_bf16 v84, v68, s[8:9]                 // 000000009640: DD488000 00084454
	s_mov_b64 exec, s[36:37]                                   // 000000009648: BEFE0124
	s_mov_b64 exec, s[24:25]                                   // 00000000964C: BEFE0118
	global_atomic_pk_add_bf16 v84, v69, s[8:9] offset:256      // 000000009650: DD488100 00084554
	s_mov_b64 exec, s[36:37]                                   // 000000009658: BEFE0124
	s_mov_b64 exec, s[26:27]                                   // 00000000965C: BEFE011A
	global_atomic_pk_add_bf16 v86, v70, s[8:9]                 // 000000009660: DD488000 00084656
	s_mov_b64 exec, s[36:37]                                   // 000000009668: BEFE0124
	s_mov_b64 exec, s[26:27]                                   // 00000000966C: BEFE011A
	global_atomic_pk_add_bf16 v86, v71, s[8:9] offset:256      // 000000009670: DD488100 00084756
	s_mov_b64 exec, s[36:37]                                   // 000000009678: BEFE0124
	s_mov_b64 exec, s[28:29]                                   // 00000000967C: BEFE011C
	global_atomic_pk_add_bf16 v88, v72, s[8:9]                 // 000000009680: DD488000 00084858
	s_mov_b64 exec, s[36:37]                                   // 000000009688: BEFE0124
	s_mov_b64 exec, s[28:29]                                   // 00000000968C: BEFE011C
	global_atomic_pk_add_bf16 v88, v73, s[8:9] offset:256      // 000000009690: DD488100 00084958
	s_mov_b64 exec, s[36:37]                                   // 000000009698: BEFE0124
	s_mov_b64 exec, s[30:31]                                   // 00000000969C: BEFE011E
	global_atomic_pk_add_bf16 v90, v74, s[8:9]                 // 0000000096A0: DD488000 00084A5A
	s_mov_b64 exec, s[36:37]                                   // 0000000096A8: BEFE0124
	s_mov_b64 exec, s[30:31]                                   // 0000000096AC: BEFE011E
	global_atomic_pk_add_bf16 v90, v75, s[8:9] offset:256      // 0000000096B0: DD488100 00084B5A
	s_mov_b64 exec, s[36:37]                                   // 0000000096B8: BEFE0124
	s_mov_b64 exec, s[32:33]                                   // 0000000096BC: BEFE0120
	global_atomic_pk_add_bf16 v92, v76, s[8:9]                 // 0000000096C0: DD488000 00084C5C
	s_mov_b64 exec, s[36:37]                                   // 0000000096C8: BEFE0124
	s_mov_b64 exec, s[32:33]                                   // 0000000096CC: BEFE0120
	global_atomic_pk_add_bf16 v92, v77, s[8:9] offset:256      // 0000000096D0: DD488100 00084D5C
	s_mov_b64 exec, s[36:37]                                   // 0000000096D8: BEFE0124
	s_mov_b64 exec, s[34:35]                                   // 0000000096DC: BEFE0122
	global_atomic_pk_add_bf16 v94, v78, s[8:9]                 // 0000000096E0: DD488000 00084E5E
	s_mov_b64 exec, s[36:37]                                   // 0000000096E8: BEFE0124
	s_mov_b64 exec, s[34:35]                                   // 0000000096EC: BEFE0122
	global_atomic_pk_add_bf16 v94, v79, s[8:9] offset:256      // 0000000096F0: DD488100 00084F5E
	s_mov_b64 exec, s[36:37]                                   // 0000000096F8: BEFE0124
	s_add_u32 s8, s59, s8                                      // 0000000096FC: 8008083B
	s_addc_u32 s9, 0, s9                                       // 000000009700: 82090980
	s_addk_i32 s80, 0x100                                      // 000000009704: B7500100
	s_cmp_lt_i32 s80, s81                                      // 000000009708: BF045150
	s_cbranch_scc0 label_1B05                                  // 00000000970C: BF840001
	s_branch label_147E                                        // 000000009710: BF82F979

0000000000009714 <label_1B05>:
	s_nop 0                                                    // 000000009714: BF800000
	s_nop 0                                                    // 000000009718: BF800000
	s_branch label_31F8                                        // 00000000971C: BF8216F0

0000000000009720 <label_1B08>:
	v_rcp_f32_e32 v44, v24                                     // 000000009720: 7E584518
	v_rcp_f32_e32 v46, v25                                     // 000000009724: 7E5C4519
	v_mov_b32_e32 v45, v44                                     // 000000009728: 7E5A032C
	v_mov_b32_e32 v47, v46                                     // 00000000972C: 7E5E032E
	v_pk_mul_f32 v[128:129], v[44:45], v[128:129]              // 000000009730: D3B14080 1803012C
	v_pk_mul_f32 v[130:131], v[44:45], v[130:131]              // 000000009738: D3B14082 1803052C
	v_pk_mul_f32 v[132:133], v[46:47], v[132:133]              // 000000009740: D3B14084 1803092E
	v_pk_mul_f32 v[134:135], v[46:47], v[134:135]              // 000000009748: D3B14086 18030D2E
	v_pk_mul_f32 v[136:137], v[44:45], v[136:137]              // 000000009750: D3B14088 1803112C
	v_pk_mul_f32 v[138:139], v[44:45], v[138:139]              // 000000009758: D3B1408A 1803152C
	v_pk_mul_f32 v[140:141], v[46:47], v[140:141]              // 000000009760: D3B1408C 1803192E
	v_pk_mul_f32 v[142:143], v[46:47], v[142:143]              // 000000009768: D3B1408E 18031D2E
	v_pk_mul_f32 v[144:145], v[44:45], v[144:145]              // 000000009770: D3B14090 1803212C
	v_pk_mul_f32 v[146:147], v[44:45], v[146:147]              // 000000009778: D3B14092 1803252C
	v_pk_mul_f32 v[148:149], v[46:47], v[148:149]              // 000000009780: D3B14094 1803292E
	v_pk_mul_f32 v[150:151], v[46:47], v[150:151]              // 000000009788: D3B14096 18032D2E
	v_pk_mul_f32 v[152:153], v[44:45], v[152:153]              // 000000009790: D3B14098 1803312C
	v_pk_mul_f32 v[154:155], v[44:45], v[154:155]              // 000000009798: D3B1409A 1803352C
	v_pk_mul_f32 v[156:157], v[46:47], v[156:157]              // 0000000097A0: D3B1409C 1803392E
	v_pk_mul_f32 v[158:159], v[46:47], v[158:159]              // 0000000097A8: D3B1409E 18033D2E
	v_pk_mul_f32 v[160:161], v[44:45], v[160:161]              // 0000000097B0: D3B140A0 1803412C
	v_pk_mul_f32 v[162:163], v[44:45], v[162:163]              // 0000000097B8: D3B140A2 1803452C
	v_pk_mul_f32 v[164:165], v[46:47], v[164:165]              // 0000000097C0: D3B140A4 1803492E
	v_pk_mul_f32 v[166:167], v[46:47], v[166:167]              // 0000000097C8: D3B140A6 18034D2E
	v_pk_mul_f32 v[168:169], v[44:45], v[168:169]              // 0000000097D0: D3B140A8 1803512C
	v_pk_mul_f32 v[170:171], v[44:45], v[170:171]              // 0000000097D8: D3B140AA 1803552C
	v_pk_mul_f32 v[172:173], v[46:47], v[172:173]              // 0000000097E0: D3B140AC 1803592E
	v_pk_mul_f32 v[174:175], v[46:47], v[174:175]              // 0000000097E8: D3B140AE 18035D2E
	v_pk_mul_f32 v[176:177], v[44:45], v[176:177]              // 0000000097F0: D3B140B0 1803612C
	v_pk_mul_f32 v[178:179], v[44:45], v[178:179]              // 0000000097F8: D3B140B2 1803652C
	v_pk_mul_f32 v[180:181], v[46:47], v[180:181]              // 000000009800: D3B140B4 1803692E
	v_pk_mul_f32 v[182:183], v[46:47], v[182:183]              // 000000009808: D3B140B6 18036D2E
	v_pk_mul_f32 v[184:185], v[44:45], v[184:185]              // 000000009810: D3B140B8 1803712C
	v_pk_mul_f32 v[186:187], v[44:45], v[186:187]              // 000000009818: D3B140BA 1803752C
	v_pk_mul_f32 v[188:189], v[46:47], v[188:189]              // 000000009820: D3B140BC 1803792E
	v_pk_mul_f32 v[190:191], v[46:47], v[190:191]              // 000000009828: D3B140BE 18037D2E
	s_waitcnt vmcnt(24) lgkmcnt(0)                             // 000000009830: BF8C4078
	s_barrier                                                  // 000000009834: BF8A0000
	v_mfma_f32_16x16x32_fp8_fp8 v[128:131], a[0:1], v[192:193], v[128:131]// 000000009838: D3F30080 0E038100
	buffer_load_dwordx4 a[128:131], v36, s[92:95], 0 offen     // 000000009840: E05C1000 80978024
	v_mfma_f32_16x16x32_fp8_fp8 v[128:131], a[2:3], v[194:195], v[128:131]// 000000009848: D3F30080 0E038502
	v_mfma_f32_16x16x32_fp8_fp8 v[128:131], a[4:5], v[196:197], v[128:131]// 000000009850: D3F30080 0E038904
	buffer_load_dword v28, s[20:23], 0 offen lds               // 000000009858: E0511000 8005001C
	buffer_load_dword v28, s[20:23], 0 offen offset:256 lds    // 000000009860: E0511100 8005001C
	s_add_u32 m0, 0x820, s51                                   // 000000009868: 807C33FF 00000820
	v_mfma_f32_16x16x32_fp8_fp8 v[128:131], a[6:7], v[198:199], v[128:131]// 000000009870: D3F30080 0E038D06
	v_mfma_f32_16x16x32_fp8_fp8 v[128:131], a[8:9], v[200:201], v[128:131]// 000000009878: D3F30080 0E039108
	buffer_load_dwordx4 a[132:135], v36, s[92:95], 0 offen offset:1024// 000000009880: E05C1400 80978424
	v_mfma_f32_16x16x32_fp8_fp8 v[128:131], a[10:11], v[202:203], v[128:131]// 000000009888: D3F30080 0E03950A
	v_mfma_f32_16x16x32_fp8_fp8 v[128:131], a[12:13], v[204:205], v[128:131]// 000000009890: D3F30080 0E03990C
	buffer_load_dword v29, s[20:23], 0 offen lds               // 000000009898: E0511000 8005001D
	buffer_load_dword v29, s[20:23], 0 offen offset:256 lds    // 0000000098A0: E0511100 8005001D
	s_add_u32 m0, 0x1040, s51                                  // 0000000098A8: 807C33FF 00001040
	v_mfma_f32_16x16x32_fp8_fp8 v[128:131], a[14:15], v[206:207], v[128:131]// 0000000098B0: D3F30080 0E039D0E
	v_mfma_f32_16x16x32_fp8_fp8 v[132:135], a[0:1], v[208:209], v[132:135]// 0000000098B8: D3F30084 0E13A100
	buffer_load_dwordx4 a[136:139], v36, s[92:95], 0 offen offset:2048// 0000000098C0: E05C1800 80978824
	v_mfma_f32_16x16x32_fp8_fp8 v[132:135], a[2:3], v[210:211], v[132:135]// 0000000098C8: D3F30084 0E13A502
	v_mfma_f32_16x16x32_fp8_fp8 v[132:135], a[4:5], v[212:213], v[132:135]// 0000000098D0: D3F30084 0E13A904
	buffer_load_dword v30, s[20:23], 0 offen lds               // 0000000098D8: E0511000 8005001E
	buffer_load_dword v30, s[20:23], 0 offen offset:256 lds    // 0000000098E0: E0511100 8005001E
	s_add_u32 m0, 0x1860, s51                                  // 0000000098E8: 807C33FF 00001860
	v_mfma_f32_16x16x32_fp8_fp8 v[132:135], a[6:7], v[214:215], v[132:135]// 0000000098F0: D3F30084 0E13AD06
	v_mfma_f32_16x16x32_fp8_fp8 v[132:135], a[8:9], v[216:217], v[132:135]// 0000000098F8: D3F30084 0E13B108
	buffer_load_dwordx4 a[140:143], v36, s[92:95], 0 offen offset:3072// 000000009900: E05C1C00 80978C24
	v_mfma_f32_16x16x32_fp8_fp8 v[132:135], a[10:11], v[218:219], v[132:135]// 000000009908: D3F30084 0E13B50A
	v_mfma_f32_16x16x32_fp8_fp8 v[132:135], a[12:13], v[220:221], v[132:135]// 000000009910: D3F30084 0E13B90C
	buffer_load_dword v31, s[20:23], 0 offen lds               // 000000009918: E0511000 8005001F
	buffer_load_dword v31, s[20:23], 0 offen offset:256 lds    // 000000009920: E0511100 8005001F
	s_add_u32 m0, 0x2080, s51                                  // 000000009928: 807C33FF 00002080
	v_mfma_f32_16x16x32_fp8_fp8 v[132:135], a[14:15], v[222:223], v[132:135]// 000000009930: D3F30084 0E13BD0E
	v_mfma_f32_16x16x32_fp8_fp8 v[136:139], a[16:17], v[192:193], v[136:139]// 000000009938: D3F30088 0E238110
	buffer_load_dwordx4 a[144:147], v37, s[92:95], 0 offen     // 000000009940: E05C1000 80979025
	v_mfma_f32_16x16x32_fp8_fp8 v[136:139], a[18:19], v[194:195], v[136:139]// 000000009948: D3F30088 0E238512
	v_mfma_f32_16x16x32_fp8_fp8 v[136:139], a[20:21], v[196:197], v[136:139]// 000000009950: D3F30088 0E238914
	buffer_load_dword v32, s[20:23], 0 offen lds               // 000000009958: E0511000 80050020
	buffer_load_dword v32, s[20:23], 0 offen offset:256 lds    // 000000009960: E0511100 80050020
	s_add_u32 m0, 0x28a0, s51                                  // 000000009968: 807C33FF 000028A0
	v_mfma_f32_16x16x32_fp8_fp8 v[136:139], a[22:23], v[198:199], v[136:139]// 000000009970: D3F30088 0E238D16
	v_mfma_f32_16x16x32_fp8_fp8 v[136:139], a[24:25], v[200:201], v[136:139]// 000000009978: D3F30088 0E239118
	buffer_load_dwordx4 a[148:151], v37, s[92:95], 0 offen offset:1024// 000000009980: E05C1400 80979425
	v_mfma_f32_16x16x32_fp8_fp8 v[136:139], a[26:27], v[202:203], v[136:139]// 000000009988: D3F30088 0E23951A
	v_mfma_f32_16x16x32_fp8_fp8 v[136:139], a[28:29], v[204:205], v[136:139]// 000000009990: D3F30088 0E23991C
	buffer_load_dword v33, s[20:23], 0 offen lds               // 000000009998: E0511000 80050021
	buffer_load_dword v33, s[20:23], 0 offen offset:256 lds    // 0000000099A0: E0511100 80050021
	s_add_u32 m0, 0x30c0, s51                                  // 0000000099A8: 807C33FF 000030C0
	v_mfma_f32_16x16x32_fp8_fp8 v[136:139], a[30:31], v[206:207], v[136:139]// 0000000099B0: D3F30088 0E239D1E
	v_mfma_f32_16x16x32_fp8_fp8 v[140:143], a[16:17], v[208:209], v[140:143]// 0000000099B8: D3F3008C 0E33A110
	buffer_load_dwordx4 a[152:155], v37, s[92:95], 0 offen offset:2048// 0000000099C0: E05C1800 80979825
	v_mfma_f32_16x16x32_fp8_fp8 v[140:143], a[18:19], v[210:211], v[140:143]// 0000000099C8: D3F3008C 0E33A512
	v_mfma_f32_16x16x32_fp8_fp8 v[140:143], a[20:21], v[212:213], v[140:143]// 0000000099D0: D3F3008C 0E33A914
	buffer_load_dword v34, s[20:23], 0 offen lds               // 0000000099D8: E0511000 80050022
	buffer_load_dword v34, s[20:23], 0 offen offset:256 lds    // 0000000099E0: E0511100 80050022
	s_add_u32 m0, 0x38e0, s51                                  // 0000000099E8: 807C33FF 000038E0
	v_mfma_f32_16x16x32_fp8_fp8 v[140:143], a[22:23], v[214:215], v[140:143]// 0000000099F0: D3F3008C 0E33AD16
	v_mfma_f32_16x16x32_fp8_fp8 v[140:143], a[24:25], v[216:217], v[140:143]// 0000000099F8: D3F3008C 0E33B118
	buffer_load_dwordx4 a[156:159], v37, s[92:95], 0 offen offset:3072// 000000009A00: E05C1C00 80979C25
	v_mfma_f32_16x16x32_fp8_fp8 v[140:143], a[26:27], v[218:219], v[140:143]// 000000009A08: D3F3008C 0E33B51A
	v_mfma_f32_16x16x32_fp8_fp8 v[140:143], a[28:29], v[220:221], v[140:143]// 000000009A10: D3F3008C 0E33B91C
	buffer_load_dword v35, s[20:23], 0 offen lds               // 000000009A18: E0511000 80050023
	buffer_load_dword v35, s[20:23], 0 offen offset:256 lds    // 000000009A20: E0511100 80050023
	s_add_u32 m0, 0, s50                                       // 000000009A28: 807C3280
	v_mfma_f32_16x16x32_fp8_fp8 v[140:143], a[30:31], v[222:223], v[140:143]// 000000009A2C: D3F3008C 0E33BD1E
	buffer_load_dword v15, v6, s[28:31], 0 offen               // 000000009A34: E0501000 80070F06
	s_waitcnt vmcnt(45)                                        // 000000009A3C: BF8C8F7D
	v_mfma_f32_16x16x32_fp8_fp8 v[144:147], a[32:33], v[192:193], v[144:147]// 000000009A40: D3F30090 0E438120
	buffer_load_dwordx4 a[160:163], v38, s[92:95], 0 offen     // 000000009A48: E05C1000 8097A026
	v_mfma_f32_16x16x32_fp8_fp8 v[144:147], a[34:35], v[194:195], v[144:147]// 000000009A50: D3F30090 0E438522
	v_mfma_f32_16x16x32_fp8_fp8 v[144:147], a[36:37], v[196:197], v[144:147]// 000000009A58: D3F30090 0E438924
	v_mfma_f32_16x16x32_fp8_fp8 v[144:147], a[38:39], v[198:199], v[144:147]// 000000009A60: D3F30090 0E438D26
	v_mfma_f32_16x16x32_fp8_fp8 v[144:147], a[40:41], v[200:201], v[144:147]// 000000009A68: D3F30090 0E439128
	buffer_load_dwordx4 a[164:167], v38, s[92:95], 0 offen offset:1024// 000000009A70: E05C1400 8097A426
	v_mfma_f32_16x16x32_fp8_fp8 v[144:147], a[42:43], v[202:203], v[144:147]// 000000009A78: D3F30090 0E43952A
	v_mfma_f32_16x16x32_fp8_fp8 v[144:147], a[44:45], v[204:205], v[144:147]// 000000009A80: D3F30090 0E43992C
	v_mfma_f32_16x16x32_fp8_fp8 v[144:147], a[46:47], v[206:207], v[144:147]// 000000009A88: D3F30090 0E439D2E
	v_mfma_f32_16x16x32_fp8_fp8 v[148:151], a[32:33], v[208:209], v[148:151]// 000000009A90: D3F30094 0E53A120
	buffer_load_dwordx4 a[168:171], v38, s[92:95], 0 offen offset:2048// 000000009A98: E05C1800 8097A826
	v_mfma_f32_16x16x32_fp8_fp8 v[148:151], a[34:35], v[210:211], v[148:151]// 000000009AA0: D3F30094 0E53A522
	v_mfma_f32_16x16x32_fp8_fp8 v[148:151], a[36:37], v[212:213], v[148:151]// 000000009AA8: D3F30094 0E53A924
	v_mfma_f32_16x16x32_fp8_fp8 v[148:151], a[38:39], v[214:215], v[148:151]// 000000009AB0: D3F30094 0E53AD26
	v_mfma_f32_16x16x32_fp8_fp8 v[148:151], a[40:41], v[216:217], v[148:151]// 000000009AB8: D3F30094 0E53B128
	buffer_load_dwordx4 a[172:175], v38, s[92:95], 0 offen offset:3072// 000000009AC0: E05C1C00 8097AC26
	v_mfma_f32_16x16x32_fp8_fp8 v[148:151], a[42:43], v[218:219], v[148:151]// 000000009AC8: D3F30094 0E53B52A
	v_mfma_f32_16x16x32_fp8_fp8 v[148:151], a[44:45], v[220:221], v[148:151]// 000000009AD0: D3F30094 0E53B92C
	v_mfma_f32_16x16x32_fp8_fp8 v[148:151], a[46:47], v[222:223], v[148:151]// 000000009AD8: D3F30094 0E53BD2E
	s_waitcnt vmcnt(45)                                        // 000000009AE0: BF8C8F7D
	v_mfma_f32_16x16x32_fp8_fp8 v[152:155], a[48:49], v[192:193], v[152:155]// 000000009AE4: D3F30098 0E638130
	buffer_load_dwordx4 a[176:179], v39, s[92:95], 0 offen     // 000000009AEC: E05C1000 8097B027
	v_mfma_f32_16x16x32_fp8_fp8 v[152:155], a[50:51], v[194:195], v[152:155]// 000000009AF4: D3F30098 0E638532
	v_mfma_f32_16x16x32_fp8_fp8 v[152:155], a[52:53], v[196:197], v[152:155]// 000000009AFC: D3F30098 0E638934
	v_mfma_f32_16x16x32_fp8_fp8 v[152:155], a[54:55], v[198:199], v[152:155]// 000000009B04: D3F30098 0E638D36
	v_mfma_f32_16x16x32_fp8_fp8 v[152:155], a[56:57], v[200:201], v[152:155]// 000000009B0C: D3F30098 0E639138
	buffer_load_dwordx4 a[180:183], v39, s[92:95], 0 offen offset:1024// 000000009B14: E05C1400 8097B427
	v_mfma_f32_16x16x32_fp8_fp8 v[152:155], a[58:59], v[202:203], v[152:155]// 000000009B1C: D3F30098 0E63953A
	v_mfma_f32_16x16x32_fp8_fp8 v[152:155], a[60:61], v[204:205], v[152:155]// 000000009B24: D3F30098 0E63993C
	v_mfma_f32_16x16x32_fp8_fp8 v[152:155], a[62:63], v[206:207], v[152:155]// 000000009B2C: D3F30098 0E639D3E
	v_mfma_f32_16x16x32_fp8_fp8 v[156:159], a[48:49], v[208:209], v[156:159]// 000000009B34: D3F3009C 0E73A130
	buffer_load_dwordx4 a[184:187], v39, s[92:95], 0 offen offset:2048// 000000009B3C: E05C1800 8097B827
	v_mfma_f32_16x16x32_fp8_fp8 v[156:159], a[50:51], v[210:211], v[156:159]// 000000009B44: D3F3009C 0E73A532
	v_mfma_f32_16x16x32_fp8_fp8 v[156:159], a[52:53], v[212:213], v[156:159]// 000000009B4C: D3F3009C 0E73A934
	v_mfma_f32_16x16x32_fp8_fp8 v[156:159], a[54:55], v[214:215], v[156:159]// 000000009B54: D3F3009C 0E73AD36
	v_mfma_f32_16x16x32_fp8_fp8 v[156:159], a[56:57], v[216:217], v[156:159]// 000000009B5C: D3F3009C 0E73B138
	buffer_load_dwordx4 a[188:191], v39, s[92:95], 0 offen offset:3072// 000000009B64: E05C1C00 8097BC27
	v_mfma_f32_16x16x32_fp8_fp8 v[156:159], a[58:59], v[218:219], v[156:159]// 000000009B6C: D3F3009C 0E73B53A
	v_mfma_f32_16x16x32_fp8_fp8 v[156:159], a[60:61], v[220:221], v[156:159]// 000000009B74: D3F3009C 0E73B93C
	v_mfma_f32_16x16x32_fp8_fp8 v[156:159], a[62:63], v[222:223], v[156:159]// 000000009B7C: D3F3009C 0E73BD3E
	s_waitcnt vmcnt(45)                                        // 000000009B84: BF8C8F7D
	v_mfma_f32_16x16x32_fp8_fp8 v[160:163], a[64:65], v[192:193], v[160:163]// 000000009B88: D3F300A0 0E838140
	buffer_load_dwordx4 a[192:195], v40, s[92:95], 0 offen     // 000000009B90: E05C1000 8097C028
	v_mfma_f32_16x16x32_fp8_fp8 v[160:163], a[66:67], v[194:195], v[160:163]// 000000009B98: D3F300A0 0E838542
	v_mfma_f32_16x16x32_fp8_fp8 v[160:163], a[68:69], v[196:197], v[160:163]// 000000009BA0: D3F300A0 0E838944
	v_mfma_f32_16x16x32_fp8_fp8 v[160:163], a[70:71], v[198:199], v[160:163]// 000000009BA8: D3F300A0 0E838D46
	v_mfma_f32_16x16x32_fp8_fp8 v[160:163], a[72:73], v[200:201], v[160:163]// 000000009BB0: D3F300A0 0E839148
	buffer_load_dwordx4 a[196:199], v40, s[92:95], 0 offen offset:1024// 000000009BB8: E05C1400 8097C428
	v_mfma_f32_16x16x32_fp8_fp8 v[160:163], a[74:75], v[202:203], v[160:163]// 000000009BC0: D3F300A0 0E83954A
	v_mfma_f32_16x16x32_fp8_fp8 v[160:163], a[76:77], v[204:205], v[160:163]// 000000009BC8: D3F300A0 0E83994C
	v_mfma_f32_16x16x32_fp8_fp8 v[160:163], a[78:79], v[206:207], v[160:163]// 000000009BD0: D3F300A0 0E839D4E
	v_mfma_f32_16x16x32_fp8_fp8 v[164:167], a[64:65], v[208:209], v[164:167]// 000000009BD8: D3F300A4 0E93A140
	buffer_load_dwordx4 a[200:203], v40, s[92:95], 0 offen offset:2048// 000000009BE0: E05C1800 8097C828
	v_mfma_f32_16x16x32_fp8_fp8 v[164:167], a[66:67], v[210:211], v[164:167]// 000000009BE8: D3F300A4 0E93A542
	v_mfma_f32_16x16x32_fp8_fp8 v[164:167], a[68:69], v[212:213], v[164:167]// 000000009BF0: D3F300A4 0E93A944
	v_mfma_f32_16x16x32_fp8_fp8 v[164:167], a[70:71], v[214:215], v[164:167]// 000000009BF8: D3F300A4 0E93AD46
	v_mfma_f32_16x16x32_fp8_fp8 v[164:167], a[72:73], v[216:217], v[164:167]// 000000009C00: D3F300A4 0E93B148
	buffer_load_dwordx4 a[204:207], v40, s[92:95], 0 offen offset:3072// 000000009C08: E05C1C00 8097CC28
	v_mfma_f32_16x16x32_fp8_fp8 v[164:167], a[74:75], v[218:219], v[164:167]// 000000009C10: D3F300A4 0E93B54A
	v_mfma_f32_16x16x32_fp8_fp8 v[164:167], a[76:77], v[220:221], v[164:167]// 000000009C18: D3F300A4 0E93B94C
	v_mfma_f32_16x16x32_fp8_fp8 v[164:167], a[78:79], v[222:223], v[164:167]// 000000009C20: D3F300A4 0E93BD4E
	s_waitcnt vmcnt(45)                                        // 000000009C28: BF8C8F7D
	v_mfma_f32_16x16x32_fp8_fp8 v[168:171], a[80:81], v[192:193], v[168:171]// 000000009C2C: D3F300A8 0EA38150
	buffer_load_dwordx4 a[208:211], v41, s[92:95], 0 offen     // 000000009C34: E05C1000 8097D029
	v_mfma_f32_16x16x32_fp8_fp8 v[168:171], a[82:83], v[194:195], v[168:171]// 000000009C3C: D3F300A8 0EA38552
	v_mfma_f32_16x16x32_fp8_fp8 v[168:171], a[84:85], v[196:197], v[168:171]// 000000009C44: D3F300A8 0EA38954
	v_mfma_f32_16x16x32_fp8_fp8 v[168:171], a[86:87], v[198:199], v[168:171]// 000000009C4C: D3F300A8 0EA38D56
	v_mfma_f32_16x16x32_fp8_fp8 v[168:171], a[88:89], v[200:201], v[168:171]// 000000009C54: D3F300A8 0EA39158
	buffer_load_dwordx4 a[212:215], v41, s[92:95], 0 offen offset:1024// 000000009C5C: E05C1400 8097D429
	v_mfma_f32_16x16x32_fp8_fp8 v[168:171], a[90:91], v[202:203], v[168:171]// 000000009C64: D3F300A8 0EA3955A
	v_mfma_f32_16x16x32_fp8_fp8 v[168:171], a[92:93], v[204:205], v[168:171]// 000000009C6C: D3F300A8 0EA3995C
	v_mfma_f32_16x16x32_fp8_fp8 v[168:171], a[94:95], v[206:207], v[168:171]// 000000009C74: D3F300A8 0EA39D5E
	v_mfma_f32_16x16x32_fp8_fp8 v[172:175], a[80:81], v[208:209], v[172:175]// 000000009C7C: D3F300AC 0EB3A150
	buffer_load_dwordx4 a[216:219], v41, s[92:95], 0 offen offset:2048// 000000009C84: E05C1800 8097D829
	v_mfma_f32_16x16x32_fp8_fp8 v[172:175], a[82:83], v[210:211], v[172:175]// 000000009C8C: D3F300AC 0EB3A552
	v_mfma_f32_16x16x32_fp8_fp8 v[172:175], a[84:85], v[212:213], v[172:175]// 000000009C94: D3F300AC 0EB3A954
	v_mfma_f32_16x16x32_fp8_fp8 v[172:175], a[86:87], v[214:215], v[172:175]// 000000009C9C: D3F300AC 0EB3AD56
	v_mfma_f32_16x16x32_fp8_fp8 v[172:175], a[88:89], v[216:217], v[172:175]// 000000009CA4: D3F300AC 0EB3B158
	buffer_load_dwordx4 a[220:223], v41, s[92:95], 0 offen offset:3072// 000000009CAC: E05C1C00 8097DC29
	v_mfma_f32_16x16x32_fp8_fp8 v[172:175], a[90:91], v[218:219], v[172:175]// 000000009CB4: D3F300AC 0EB3B55A
	v_mfma_f32_16x16x32_fp8_fp8 v[172:175], a[92:93], v[220:221], v[172:175]// 000000009CBC: D3F300AC 0EB3B95C
	v_mfma_f32_16x16x32_fp8_fp8 v[172:175], a[94:95], v[222:223], v[172:175]// 000000009CC4: D3F300AC 0EB3BD5E
	s_waitcnt vmcnt(45)                                        // 000000009CCC: BF8C8F7D
	v_mfma_f32_16x16x32_fp8_fp8 v[176:179], a[96:97], v[192:193], v[176:179]// 000000009CD0: D3F300B0 0EC38160
	buffer_load_dwordx4 a[224:227], v42, s[92:95], 0 offen     // 000000009CD8: E05C1000 8097E02A
	v_mfma_f32_16x16x32_fp8_fp8 v[176:179], a[98:99], v[194:195], v[176:179]// 000000009CE0: D3F300B0 0EC38562
	v_mfma_f32_16x16x32_fp8_fp8 v[176:179], a[100:101], v[196:197], v[176:179]// 000000009CE8: D3F300B0 0EC38964
	v_mfma_f32_16x16x32_fp8_fp8 v[176:179], a[102:103], v[198:199], v[176:179]// 000000009CF0: D3F300B0 0EC38D66
	v_mfma_f32_16x16x32_fp8_fp8 v[176:179], a[104:105], v[200:201], v[176:179]// 000000009CF8: D3F300B0 0EC39168
	buffer_load_dwordx4 a[228:231], v42, s[92:95], 0 offen offset:1024// 000000009D00: E05C1400 8097E42A
	v_mfma_f32_16x16x32_fp8_fp8 v[176:179], a[106:107], v[202:203], v[176:179]// 000000009D08: D3F300B0 0EC3956A
	v_mfma_f32_16x16x32_fp8_fp8 v[176:179], a[108:109], v[204:205], v[176:179]// 000000009D10: D3F300B0 0EC3996C
	v_mfma_f32_16x16x32_fp8_fp8 v[176:179], a[110:111], v[206:207], v[176:179]// 000000009D18: D3F300B0 0EC39D6E
	v_mfma_f32_16x16x32_fp8_fp8 v[180:183], a[96:97], v[208:209], v[180:183]// 000000009D20: D3F300B4 0ED3A160
	buffer_load_dwordx4 a[232:235], v42, s[92:95], 0 offen offset:2048// 000000009D28: E05C1800 8097E82A
	v_mfma_f32_16x16x32_fp8_fp8 v[180:183], a[98:99], v[210:211], v[180:183]// 000000009D30: D3F300B4 0ED3A562
	v_mfma_f32_16x16x32_fp8_fp8 v[180:183], a[100:101], v[212:213], v[180:183]// 000000009D38: D3F300B4 0ED3A964
	v_mfma_f32_16x16x32_fp8_fp8 v[180:183], a[102:103], v[214:215], v[180:183]// 000000009D40: D3F300B4 0ED3AD66
	v_mfma_f32_16x16x32_fp8_fp8 v[180:183], a[104:105], v[216:217], v[180:183]// 000000009D48: D3F300B4 0ED3B168
	buffer_load_dwordx4 a[236:239], v42, s[92:95], 0 offen offset:3072// 000000009D50: E05C1C00 8097EC2A
	v_mfma_f32_16x16x32_fp8_fp8 v[180:183], a[106:107], v[218:219], v[180:183]// 000000009D58: D3F300B4 0ED3B56A
	v_mfma_f32_16x16x32_fp8_fp8 v[180:183], a[108:109], v[220:221], v[180:183]// 000000009D60: D3F300B4 0ED3B96C
	v_mfma_f32_16x16x32_fp8_fp8 v[180:183], a[110:111], v[222:223], v[180:183]// 000000009D68: D3F300B4 0ED3BD6E
	s_waitcnt vmcnt(45)                                        // 000000009D70: BF8C8F7D
	v_mfma_f32_16x16x32_fp8_fp8 v[184:187], a[112:113], v[192:193], v[184:187]// 000000009D74: D3F300B8 0EE38170
	buffer_load_dwordx4 a[240:243], v43, s[92:95], 0 offen     // 000000009D7C: E05C1000 8097F02B
	v_mfma_f32_16x16x32_fp8_fp8 v[184:187], a[114:115], v[194:195], v[184:187]// 000000009D84: D3F300B8 0EE38572
	v_mfma_f32_16x16x32_fp8_fp8 v[184:187], a[116:117], v[196:197], v[184:187]// 000000009D8C: D3F300B8 0EE38974
	v_mfma_f32_16x16x32_fp8_fp8 v[184:187], a[118:119], v[198:199], v[184:187]// 000000009D94: D3F300B8 0EE38D76
	v_mfma_f32_16x16x32_fp8_fp8 v[184:187], a[120:121], v[200:201], v[184:187]// 000000009D9C: D3F300B8 0EE39178
	buffer_load_dwordx4 a[244:247], v43, s[92:95], 0 offen offset:1024// 000000009DA4: E05C1400 8097F42B
	v_mfma_f32_16x16x32_fp8_fp8 v[184:187], a[122:123], v[202:203], v[184:187]// 000000009DAC: D3F300B8 0EE3957A
	v_mfma_f32_16x16x32_fp8_fp8 v[184:187], a[124:125], v[204:205], v[184:187]// 000000009DB4: D3F300B8 0EE3997C
	v_mfma_f32_16x16x32_fp8_fp8 v[184:187], a[126:127], v[206:207], v[184:187]// 000000009DBC: D3F300B8 0EE39D7E
	v_mfma_f32_16x16x32_fp8_fp8 v[188:191], a[112:113], v[208:209], v[188:191]// 000000009DC4: D3F300BC 0EF3A170
	buffer_load_dwordx4 a[248:251], v43, s[92:95], 0 offen offset:2048// 000000009DCC: E05C1800 8097F82B
	v_mfma_f32_16x16x32_fp8_fp8 v[188:191], a[114:115], v[210:211], v[188:191]// 000000009DD4: D3F300BC 0EF3A572
	v_mfma_f32_16x16x32_fp8_fp8 v[188:191], a[116:117], v[212:213], v[188:191]// 000000009DDC: D3F300BC 0EF3A974
	v_mfma_f32_16x16x32_fp8_fp8 v[188:191], a[118:119], v[214:215], v[188:191]// 000000009DE4: D3F300BC 0EF3AD76
	v_mfma_f32_16x16x32_fp8_fp8 v[188:191], a[120:121], v[216:217], v[188:191]// 000000009DEC: D3F300BC 0EF3B178
	buffer_load_dwordx4 a[252:255], v43, s[92:95], 0 offen offset:3072// 000000009DF4: E05C1C00 8097FC2B
	v_mfma_f32_16x16x32_fp8_fp8 v[188:191], a[122:123], v[218:219], v[188:191]// 000000009DFC: D3F300BC 0EF3B57A
	v_mfma_f32_16x16x32_fp8_fp8 v[188:191], a[124:125], v[220:221], v[188:191]// 000000009E04: D3F300BC 0EF3B97C
	v_mfma_f32_16x16x32_fp8_fp8 v[188:191], a[126:127], v[222:223], v[188:191]// 000000009E0C: D3F300BC 0EF3BD7E
	v_mov_b32_e32 v44, v24                                     // 000000009E14: 7E580318
	v_mov_b32_e32 v46, v25                                     // 000000009E18: 7E5C0319
	v_mov_b32_e32 v45, v44                                     // 000000009E1C: 7E5A032C
	v_mov_b32_e32 v47, v46                                     // 000000009E20: 7E5E032E
	v_pk_mul_f32 v[128:129], v[44:45], v[128:129]              // 000000009E24: D3B14080 1803012C
	v_pk_mul_f32 v[130:131], v[44:45], v[130:131]              // 000000009E2C: D3B14082 1803052C
	v_pk_mul_f32 v[132:133], v[46:47], v[132:133]              // 000000009E34: D3B14084 1803092E
	v_pk_mul_f32 v[134:135], v[46:47], v[134:135]              // 000000009E3C: D3B14086 18030D2E
	v_pk_mul_f32 v[136:137], v[44:45], v[136:137]              // 000000009E44: D3B14088 1803112C
	v_pk_mul_f32 v[138:139], v[44:45], v[138:139]              // 000000009E4C: D3B1408A 1803152C
	v_pk_mul_f32 v[140:141], v[46:47], v[140:141]              // 000000009E54: D3B1408C 1803192E
	v_pk_mul_f32 v[142:143], v[46:47], v[142:143]              // 000000009E5C: D3B1408E 18031D2E
	v_pk_mul_f32 v[144:145], v[44:45], v[144:145]              // 000000009E64: D3B14090 1803212C
	v_pk_mul_f32 v[146:147], v[44:45], v[146:147]              // 000000009E6C: D3B14092 1803252C
	v_pk_mul_f32 v[148:149], v[46:47], v[148:149]              // 000000009E74: D3B14094 1803292E
	v_pk_mul_f32 v[150:151], v[46:47], v[150:151]              // 000000009E7C: D3B14096 18032D2E
	v_pk_mul_f32 v[152:153], v[44:45], v[152:153]              // 000000009E84: D3B14098 1803312C
	v_pk_mul_f32 v[154:155], v[44:45], v[154:155]              // 000000009E8C: D3B1409A 1803352C
	v_pk_mul_f32 v[156:157], v[46:47], v[156:157]              // 000000009E94: D3B1409C 1803392E
	v_pk_mul_f32 v[158:159], v[46:47], v[158:159]              // 000000009E9C: D3B1409E 18033D2E
	v_pk_mul_f32 v[160:161], v[44:45], v[160:161]              // 000000009EA4: D3B140A0 1803412C
	v_pk_mul_f32 v[162:163], v[44:45], v[162:163]              // 000000009EAC: D3B140A2 1803452C
	v_pk_mul_f32 v[164:165], v[46:47], v[164:165]              // 000000009EB4: D3B140A4 1803492E
	v_pk_mul_f32 v[166:167], v[46:47], v[166:167]              // 000000009EBC: D3B140A6 18034D2E
	v_pk_mul_f32 v[168:169], v[44:45], v[168:169]              // 000000009EC4: D3B140A8 1803512C
	v_pk_mul_f32 v[170:171], v[44:45], v[170:171]              // 000000009ECC: D3B140AA 1803552C
	v_pk_mul_f32 v[172:173], v[46:47], v[172:173]              // 000000009ED4: D3B140AC 1803592E
	v_pk_mul_f32 v[174:175], v[46:47], v[174:175]              // 000000009EDC: D3B140AE 18035D2E
	v_pk_mul_f32 v[176:177], v[44:45], v[176:177]              // 000000009EE4: D3B140B0 1803612C
	v_pk_mul_f32 v[178:179], v[44:45], v[178:179]              // 000000009EEC: D3B140B2 1803652C
	v_pk_mul_f32 v[180:181], v[46:47], v[180:181]              // 000000009EF4: D3B140B4 1803692E
	v_pk_mul_f32 v[182:183], v[46:47], v[182:183]              // 000000009EFC: D3B140B6 18036D2E
	v_pk_mul_f32 v[184:185], v[44:45], v[184:185]              // 000000009F04: D3B140B8 1803712C
	v_pk_mul_f32 v[186:187], v[44:45], v[186:187]              // 000000009F0C: D3B140BA 1803752C
	v_pk_mul_f32 v[188:189], v[46:47], v[188:189]              // 000000009F14: D3B140BC 1803792E
	v_pk_mul_f32 v[190:191], v[46:47], v[190:191]              // 000000009F1C: D3B140BE 18037D2E
	v_rcp_f32_e32 v44, v24                                     // 000000009F24: 7E584518
	v_rcp_f32_e32 v46, v25                                     // 000000009F28: 7E5C4519
	v_mov_b32_e32 v45, v44                                     // 000000009F2C: 7E5A032C
	v_mov_b32_e32 v47, v46                                     // 000000009F30: 7E5E032E
	v_pk_mul_f32 v[64:65], v[44:45], v[64:65]                  // 000000009F34: D3B14040 1802812C
	v_pk_mul_f32 v[66:67], v[44:45], v[66:67]                  // 000000009F3C: D3B14042 1802852C
	v_pk_mul_f32 v[68:69], v[46:47], v[68:69]                  // 000000009F44: D3B14044 1802892E
	v_pk_mul_f32 v[70:71], v[46:47], v[70:71]                  // 000000009F4C: D3B14046 18028D2E
	v_pk_mul_f32 v[72:73], v[44:45], v[72:73]                  // 000000009F54: D3B14048 1802912C
	v_pk_mul_f32 v[74:75], v[44:45], v[74:75]                  // 000000009F5C: D3B1404A 1802952C
	v_pk_mul_f32 v[76:77], v[46:47], v[76:77]                  // 000000009F64: D3B1404C 1802992E
	v_pk_mul_f32 v[78:79], v[46:47], v[78:79]                  // 000000009F6C: D3B1404E 18029D2E
	v_pk_mul_f32 v[80:81], v[44:45], v[80:81]                  // 000000009F74: D3B14050 1802A12C
	v_pk_mul_f32 v[82:83], v[44:45], v[82:83]                  // 000000009F7C: D3B14052 1802A52C
	v_pk_mul_f32 v[84:85], v[46:47], v[84:85]                  // 000000009F84: D3B14054 1802A92E
	v_pk_mul_f32 v[86:87], v[46:47], v[86:87]                  // 000000009F8C: D3B14056 1802AD2E
	v_pk_mul_f32 v[88:89], v[44:45], v[88:89]                  // 000000009F94: D3B14058 1802B12C
	v_pk_mul_f32 v[90:91], v[44:45], v[90:91]                  // 000000009F9C: D3B1405A 1802B52C
	v_pk_mul_f32 v[92:93], v[46:47], v[92:93]                  // 000000009FA4: D3B1405C 1802B92E
	v_pk_mul_f32 v[94:95], v[46:47], v[94:95]                  // 000000009FAC: D3B1405E 1802BD2E
	v_pk_mul_f32 v[96:97], v[44:45], v[96:97]                  // 000000009FB4: D3B14060 1802C12C
	v_pk_mul_f32 v[98:99], v[44:45], v[98:99]                  // 000000009FBC: D3B14062 1802C52C
	v_pk_mul_f32 v[100:101], v[46:47], v[100:101]              // 000000009FC4: D3B14064 1802C92E
	v_pk_mul_f32 v[102:103], v[46:47], v[102:103]              // 000000009FCC: D3B14066 1802CD2E
	v_pk_mul_f32 v[104:105], v[44:45], v[104:105]              // 000000009FD4: D3B14068 1802D12C
	v_pk_mul_f32 v[106:107], v[44:45], v[106:107]              // 000000009FDC: D3B1406A 1802D52C
	v_pk_mul_f32 v[108:109], v[46:47], v[108:109]              // 000000009FE4: D3B1406C 1802D92E
	v_pk_mul_f32 v[110:111], v[46:47], v[110:111]              // 000000009FEC: D3B1406E 1802DD2E
	v_pk_mul_f32 v[112:113], v[44:45], v[112:113]              // 000000009FF4: D3B14070 1802E12C
	v_pk_mul_f32 v[114:115], v[44:45], v[114:115]              // 000000009FFC: D3B14072 1802E52C
	v_pk_mul_f32 v[116:117], v[46:47], v[116:117]              // 00000000A004: D3B14074 1802E92E
	v_pk_mul_f32 v[118:119], v[46:47], v[118:119]              // 00000000A00C: D3B14076 1802ED2E
	v_pk_mul_f32 v[120:121], v[44:45], v[120:121]              // 00000000A014: D3B14078 1802F12C
	v_pk_mul_f32 v[122:123], v[44:45], v[122:123]              // 00000000A01C: D3B1407A 1802F52C
	v_pk_mul_f32 v[124:125], v[46:47], v[124:125]              // 00000000A024: D3B1407C 1802F92E
	v_pk_mul_f32 v[126:127], v[46:47], v[126:127]              // 00000000A02C: D3B1407E 1802FD2E
	s_waitcnt vmcnt(24)                                        // 00000000A034: BF8C4F78
	s_barrier                                                  // 00000000A038: BF8A0000
	v_mfma_f32_16x16x32_fp8_fp8 v[64:67], a[128:129], v[192:193], v[64:67]// 00000000A03C: D3F30040 0D038180
	buffer_load_dwordx4 a[0:3], v36, s[24:27], 0 offen         // 00000000A044: E05C1000 80860024
	v_mfma_f32_16x16x32_fp8_fp8 v[64:67], a[130:131], v[194:195], v[64:67]// 00000000A04C: D3F30040 0D038582
	ds_read_b64 v[224:225], v2 offset:18688                    // 00000000A054: D8EC4900 E0000002
	ds_read_b64 v[228:229], v2 offset:27008                    // 00000000A05C: D8EC6980 E4000002
	v_mfma_f32_16x16x32_fp8_fp8 v[64:67], a[132:133], v[196:197], v[64:67]// 00000000A064: D3F30040 0D038984
	v_mfma_f32_16x16x32_fp8_fp8 v[64:67], a[134:135], v[198:199], v[64:67]// 00000000A06C: D3F30040 0D038D86
	ds_read_b64 v[232:233], v2 offset:18816                    // 00000000A074: D8EC4980 E8000002
	ds_read_b64 v[236:237], v2 offset:27136                    // 00000000A07C: D8EC6A00 EC000002
	v_mfma_f32_16x16x32_fp8_fp8 v[64:67], a[136:137], v[200:201], v[64:67]// 00000000A084: D3F30040 0D039188
	buffer_load_dwordx4 a[4:7], v36, s[24:27], 0 offen offset:1024// 00000000A08C: E05C1400 80860424
	v_mfma_f32_16x16x32_fp8_fp8 v[64:67], a[138:139], v[202:203], v[64:67]// 00000000A094: D3F30040 0D03958A
	ds_read_b64 v[240:241], v2 offset:18944                    // 00000000A09C: D8EC4A00 F0000002
	ds_read_b64 v[244:245], v2 offset:27264                    // 00000000A0A4: D8EC6A80 F4000002
	v_mfma_f32_16x16x32_fp8_fp8 v[64:67], a[140:141], v[204:205], v[64:67]// 00000000A0AC: D3F30040 0D03998C
	v_mfma_f32_16x16x32_fp8_fp8 v[64:67], a[142:143], v[206:207], v[64:67]// 00000000A0B4: D3F30040 0D039D8E
	ds_read_b64 v[248:249], v2 offset:19072                    // 00000000A0BC: D8EC4A80 F8000002
	ds_read_b64 v[252:253], v2 offset:27392                    // 00000000A0C4: D8EC6B00 FC000002
	s_waitcnt lgkmcnt(4)                                       // 00000000A0CC: BF8CC47F
	v_and_b32_e32 v227, 0xffff0000, v225                       // 00000000A0D0: 27C7C2FF FFFF0000
	v_lshlrev_b32_e32 v226, 16, v225                           // 00000000A0D8: 25C5C290
	v_and_b32_e32 v225, 0xffff0000, v224                       // 00000000A0DC: 27C3C0FF FFFF0000
	v_lshlrev_b32_e32 v224, 16, v224                           // 00000000A0E4: 25C1C090
	v_and_b32_e32 v231, 0xffff0000, v229                       // 00000000A0E8: 27CFCAFF FFFF0000
	v_lshlrev_b32_e32 v230, 16, v229                           // 00000000A0F0: 25CDCA90
	v_and_b32_e32 v229, 0xffff0000, v228                       // 00000000A0F4: 27CBC8FF FFFF0000
	v_lshlrev_b32_e32 v228, 16, v228                           // 00000000A0FC: 25C9C890
	v_and_b32_e32 v235, 0xffff0000, v233                       // 00000000A100: 27D7D2FF FFFF0000
	v_lshlrev_b32_e32 v234, 16, v233                           // 00000000A108: 25D5D290
	v_and_b32_e32 v233, 0xffff0000, v232                       // 00000000A10C: 27D3D0FF FFFF0000
	v_lshlrev_b32_e32 v232, 16, v232                           // 00000000A114: 25D1D090
	v_and_b32_e32 v239, 0xffff0000, v237                       // 00000000A118: 27DFDAFF FFFF0000
	v_lshlrev_b32_e32 v238, 16, v237                           // 00000000A120: 25DDDA90
	v_and_b32_e32 v237, 0xffff0000, v236                       // 00000000A124: 27DBD8FF FFFF0000
	v_lshlrev_b32_e32 v236, 16, v236                           // 00000000A12C: 25D9D890
	v_mul_f32_dpp v224, v15, v224 row_newbcast:0 row_mask:0xf bank_mask:0xf// 00000000A130: 0BC1C0FA FF01500F
	v_mul_f32_dpp v225, v15, v225 row_newbcast:1 row_mask:0xf bank_mask:0xf// 00000000A138: 0BC3C2FA FF01510F
	v_mul_f32_dpp v226, v15, v226 row_newbcast:2 row_mask:0xf bank_mask:0xf// 00000000A140: 0BC5C4FA FF01520F
	v_mul_f32_dpp v227, v15, v227 row_newbcast:3 row_mask:0xf bank_mask:0xf// 00000000A148: 0BC7C6FA FF01530F
	v_mul_f32_dpp v228, v15, v228 row_newbcast:0 row_mask:0xf bank_mask:0xf// 00000000A150: 0BC9C8FA FF01500F
	v_mul_f32_dpp v229, v15, v229 row_newbcast:1 row_mask:0xf bank_mask:0xf// 00000000A158: 0BCBCAFA FF01510F
	v_mul_f32_dpp v230, v15, v230 row_newbcast:2 row_mask:0xf bank_mask:0xf// 00000000A160: 0BCDCCFA FF01520F
	v_mul_f32_dpp v231, v15, v231 row_newbcast:3 row_mask:0xf bank_mask:0xf// 00000000A168: 0BCFCEFA FF01530F
	v_mul_f32_dpp v232, v15, v232 row_newbcast:4 row_mask:0xf bank_mask:0xf// 00000000A170: 0BD1D0FA FF01540F
	v_mul_f32_dpp v233, v15, v233 row_newbcast:5 row_mask:0xf bank_mask:0xf// 00000000A178: 0BD3D2FA FF01550F
	v_mul_f32_dpp v234, v15, v234 row_newbcast:6 row_mask:0xf bank_mask:0xf// 00000000A180: 0BD5D4FA FF01560F
	v_mul_f32_dpp v235, v15, v235 row_newbcast:7 row_mask:0xf bank_mask:0xf// 00000000A188: 0BD7D6FA FF01570F
	v_mul_f32_dpp v236, v15, v236 row_newbcast:4 row_mask:0xf bank_mask:0xf// 00000000A190: 0BD9D8FA FF01540F
	v_mul_f32_dpp v237, v15, v237 row_newbcast:5 row_mask:0xf bank_mask:0xf// 00000000A198: 0BDBDAFA FF01550F
	v_mul_f32_dpp v238, v15, v238 row_newbcast:6 row_mask:0xf bank_mask:0xf// 00000000A1A0: 0BDDDCFA FF01560F
	v_mul_f32_dpp v239, v15, v239 row_newbcast:7 row_mask:0xf bank_mask:0xf// 00000000A1A8: 0BDFDEFA FF01570F
	v_mfma_f32_16x16x32_fp8_fp8 v[68:71], a[128:129], v[208:209], v[68:71]// 00000000A1B0: D3F30044 0D13A180
	buffer_load_dwordx4 a[8:11], v36, s[24:27], 0 offen offset:2048// 00000000A1B8: E05C1800 80860824
	v_mfma_f32_16x16x32_fp8_fp8 v[68:71], a[130:131], v[210:211], v[68:71]// 00000000A1C0: D3F30044 0D13A582
	v_mfma_f32_16x16x32_fp8_fp8 v[68:71], a[132:133], v[212:213], v[68:71]// 00000000A1C8: D3F30044 0D13A984
	v_mfma_f32_16x16x32_fp8_fp8 v[68:71], a[134:135], v[214:215], v[68:71]// 00000000A1D0: D3F30044 0D13AD86
	v_mfma_f32_16x16x32_fp8_fp8 v[68:71], a[136:137], v[216:217], v[68:71]// 00000000A1D8: D3F30044 0D13B188
	buffer_load_dwordx4 a[12:15], v36, s[24:27], 0 offen offset:3072// 00000000A1E0: E05C1C00 80860C24
	v_mfma_f32_16x16x32_fp8_fp8 v[68:71], a[138:139], v[218:219], v[68:71]// 00000000A1E8: D3F30044 0D13B58A
	v_mfma_f32_16x16x32_fp8_fp8 v[68:71], a[140:141], v[220:221], v[68:71]// 00000000A1F0: D3F30044 0D13B98C
	v_mfma_f32_16x16x32_fp8_fp8 v[68:71], a[142:143], v[222:223], v[68:71]// 00000000A1F8: D3F30044 0D13BD8E
	s_waitcnt lgkmcnt(0)                                       // 00000000A200: BF8CC07F
	v_and_b32_e32 v243, 0xffff0000, v241                       // 00000000A204: 27E7E2FF FFFF0000
	v_lshlrev_b32_e32 v242, 16, v241                           // 00000000A20C: 25E5E290
	v_and_b32_e32 v241, 0xffff0000, v240                       // 00000000A210: 27E3E0FF FFFF0000
	v_lshlrev_b32_e32 v240, 16, v240                           // 00000000A218: 25E1E090
	v_and_b32_e32 v247, 0xffff0000, v245                       // 00000000A21C: 27EFEAFF FFFF0000
	v_lshlrev_b32_e32 v246, 16, v245                           // 00000000A224: 25EDEA90
	v_and_b32_e32 v245, 0xffff0000, v244                       // 00000000A228: 27EBE8FF FFFF0000
	v_lshlrev_b32_e32 v244, 16, v244                           // 00000000A230: 25E9E890
	v_and_b32_e32 v251, 0xffff0000, v249                       // 00000000A234: 27F7F2FF FFFF0000
	v_lshlrev_b32_e32 v250, 16, v249                           // 00000000A23C: 25F5F290
	v_and_b32_e32 v249, 0xffff0000, v248                       // 00000000A240: 27F3F0FF FFFF0000
	v_lshlrev_b32_e32 v248, 16, v248                           // 00000000A248: 25F1F090
	v_and_b32_e32 v255, 0xffff0000, v253                       // 00000000A24C: 27FFFAFF FFFF0000
	v_lshlrev_b32_e32 v254, 16, v253                           // 00000000A254: 25FDFA90
	v_and_b32_e32 v253, 0xffff0000, v252                       // 00000000A258: 27FBF8FF FFFF0000
	v_lshlrev_b32_e32 v252, 16, v252                           // 00000000A260: 25F9F890
	v_mul_f32_dpp v240, v15, v240 row_newbcast:8 row_mask:0xf bank_mask:0xf// 00000000A264: 0BE1E0FA FF01580F
	v_mul_f32_dpp v241, v15, v241 row_newbcast:9 row_mask:0xf bank_mask:0xf// 00000000A26C: 0BE3E2FA FF01590F
	v_mul_f32_dpp v242, v15, v242 row_newbcast:10 row_mask:0xf bank_mask:0xf// 00000000A274: 0BE5E4FA FF015A0F
	v_mul_f32_dpp v243, v15, v243 row_newbcast:11 row_mask:0xf bank_mask:0xf// 00000000A27C: 0BE7E6FA FF015B0F
	v_mul_f32_dpp v244, v15, v244 row_newbcast:8 row_mask:0xf bank_mask:0xf// 00000000A284: 0BE9E8FA FF01580F
	v_mul_f32_dpp v245, v15, v245 row_newbcast:9 row_mask:0xf bank_mask:0xf// 00000000A28C: 0BEBEAFA FF01590F
	v_mul_f32_dpp v246, v15, v246 row_newbcast:10 row_mask:0xf bank_mask:0xf// 00000000A294: 0BEDECFA FF015A0F
	v_mul_f32_dpp v247, v15, v247 row_newbcast:11 row_mask:0xf bank_mask:0xf// 00000000A29C: 0BEFEEFA FF015B0F
	v_mul_f32_dpp v248, v15, v248 row_newbcast:12 row_mask:0xf bank_mask:0xf// 00000000A2A4: 0BF1F0FA FF015C0F
	v_mul_f32_dpp v249, v15, v249 row_newbcast:13 row_mask:0xf bank_mask:0xf// 00000000A2AC: 0BF3F2FA FF015D0F
	v_mul_f32_dpp v250, v15, v250 row_newbcast:14 row_mask:0xf bank_mask:0xf// 00000000A2B4: 0BF5F4FA FF015E0F
	v_mul_f32_dpp v251, v15, v251 row_newbcast:15 row_mask:0xf bank_mask:0xf// 00000000A2BC: 0BF7F6FA FF015F0F
	v_mul_f32_dpp v252, v15, v252 row_newbcast:12 row_mask:0xf bank_mask:0xf// 00000000A2C4: 0BF9F8FA FF015C0F
	v_mul_f32_dpp v253, v15, v253 row_newbcast:13 row_mask:0xf bank_mask:0xf// 00000000A2CC: 0BFBFAFA FF015D0F
	v_mul_f32_dpp v254, v15, v254 row_newbcast:14 row_mask:0xf bank_mask:0xf// 00000000A2D4: 0BFDFCFA FF015E0F
	v_mul_f32_dpp v255, v15, v255 row_newbcast:15 row_mask:0xf bank_mask:0xf// 00000000A2DC: 0BFFFEFA FF015F0F
	v_mfma_f32_16x16x32_fp8_fp8 v[72:75], a[144:145], v[192:193], v[72:75]// 00000000A2E4: D3F30048 0D238190
	buffer_load_dwordx4 a[16:19], v37, s[24:27], 0 offen       // 00000000A2EC: E05C1000 80861025
	v_mfma_f32_16x16x32_fp8_fp8 v[72:75], a[146:147], v[194:195], v[72:75]// 00000000A2F4: D3F30048 0D238592
	v_mfma_f32_16x16x32_fp8_fp8 v[72:75], a[148:149], v[196:197], v[72:75]// 00000000A2FC: D3F30048 0D238994
	v_mfma_f32_16x16x32_fp8_fp8 v[72:75], a[150:151], v[198:199], v[72:75]// 00000000A304: D3F30048 0D238D96
	v_mfma_f32_16x16x32_fp8_fp8 v[72:75], a[152:153], v[200:201], v[72:75]// 00000000A30C: D3F30048 0D239198
	buffer_load_dwordx4 a[20:23], v37, s[24:27], 0 offen offset:1024// 00000000A314: E05C1400 80861425
	v_mfma_f32_16x16x32_fp8_fp8 v[72:75], a[154:155], v[202:203], v[72:75]// 00000000A31C: D3F30048 0D23959A
	v_mfma_f32_16x16x32_fp8_fp8 v[72:75], a[156:157], v[204:205], v[72:75]// 00000000A324: D3F30048 0D23999C
	v_mfma_f32_16x16x32_fp8_fp8 v[72:75], a[158:159], v[206:207], v[72:75]// 00000000A32C: D3F30048 0D239D9E
	v_mov_b32_e32 v48, 0x358637bd                              // 00000000A334: 7E6002FF 358637BD
	v_mov_b32_e32 v49, 0x358637bd                              // 00000000A33C: 7E6202FF 358637BD
	v_max3_f32 v48, |v224|, |v225|, v48                        // 00000000A344: D1D30330 04C3C3E0
	v_max3_f32 v48, |v226|, |v227|, v48                        // 00000000A34C: D1D30330 04C3C7E2
	v_max3_f32 v49, |v228|, |v229|, v49                        // 00000000A354: D1D30331 04C7CBE4
	v_max3_f32 v49, |v230|, |v231|, v49                        // 00000000A35C: D1D30331 04C7CFE6
	v_max3_f32 v48, |v232|, |v233|, v48                        // 00000000A364: D1D30330 04C3D3E8
	v_max3_f32 v48, |v234|, |v235|, v48                        // 00000000A36C: D1D30330 04C3D7EA
	v_max3_f32 v49, |v236|, |v237|, v49                        // 00000000A374: D1D30331 04C7DBEC
	v_max3_f32 v49, |v238|, |v239|, v49                        // 00000000A37C: D1D30331 04C7DFEE
	v_max3_f32 v48, |v240|, |v241|, v48                        // 00000000A384: D1D30330 04C3E3F0
	v_max3_f32 v48, |v242|, |v243|, v48                        // 00000000A38C: D1D30330 04C3E7F2
	v_max3_f32 v49, |v244|, |v245|, v49                        // 00000000A394: D1D30331 04C7EBF4
	v_max3_f32 v49, |v246|, |v247|, v49                        // 00000000A39C: D1D30331 04C7EFF6
	v_max3_f32 v48, |v248|, |v249|, v48                        // 00000000A3A4: D1D30330 04C3F3F8
	v_max3_f32 v48, |v250|, |v251|, v48                        // 00000000A3AC: D1D30330 04C3F7FA
	v_max3_f32 v49, |v252|, |v253|, v49                        // 00000000A3B4: D1D30331 04C7FBFC
	v_max3_f32 v49, |v254|, |v255|, v49                        // 00000000A3BC: D1D30331 04C7FFFE
	v_mfma_f32_16x16x32_fp8_fp8 v[76:79], a[144:145], v[208:209], v[76:79]// 00000000A3C4: D3F3004C 0D33A190
	buffer_load_dwordx4 a[24:27], v37, s[24:27], 0 offen offset:2048// 00000000A3CC: E05C1800 80861825
	v_mfma_f32_16x16x32_fp8_fp8 v[76:79], a[146:147], v[210:211], v[76:79]// 00000000A3D4: D3F3004C 0D33A592
	ds_write_b64 v3, v[48:49]                                  // 00000000A3DC: D89A0000 00003003
	v_mfma_f32_16x16x32_fp8_fp8 v[76:79], a[148:149], v[212:213], v[76:79]// 00000000A3E4: D3F3004C 0D33A994
	v_mfma_f32_16x16x32_fp8_fp8 v[76:79], a[150:151], v[214:215], v[76:79]// 00000000A3EC: D3F3004C 0D33AD96
	v_mfma_f32_16x16x32_fp8_fp8 v[76:79], a[152:153], v[216:217], v[76:79]// 00000000A3F4: D3F3004C 0D33B198
	buffer_load_dwordx4 a[28:31], v37, s[24:27], 0 offen offset:3072// 00000000A3FC: E05C1C00 80861C25
	v_mfma_f32_16x16x32_fp8_fp8 v[76:79], a[154:155], v[218:219], v[76:79]// 00000000A404: D3F3004C 0D33B59A
	v_mfma_f32_16x16x32_fp8_fp8 v[76:79], a[156:157], v[220:221], v[76:79]// 00000000A40C: D3F3004C 0D33B99C
	v_mfma_f32_16x16x32_fp8_fp8 v[76:79], a[158:159], v[222:223], v[76:79]// 00000000A414: D3F3004C 0D33BD9E
	s_waitcnt lgkmcnt(0)                                       // 00000000A41C: BF8CC07F
	s_barrier                                                  // 00000000A420: BF8A0000
	s_waitcnt vmcnt(28)                                        // 00000000A424: BF8C4F7C
	v_mfma_f32_16x16x32_fp8_fp8 v[80:83], a[160:161], v[192:193], v[80:83]// 00000000A428: D3F30050 0D4381A0
	buffer_load_dwordx4 a[32:35], v38, s[24:27], 0 offen       // 00000000A430: E05C1000 80862026
	v_mfma_f32_16x16x32_fp8_fp8 v[80:83], a[162:163], v[194:195], v[80:83]// 00000000A438: D3F30050 0D4385A2
	ds_read_b64 v[48:49], v4                                   // 00000000A440: D8EC0000 30000004
	ds_read_b64 v[50:51], v4 offset:128                        // 00000000A448: D8EC0080 32000004
	v_mfma_f32_16x16x32_fp8_fp8 v[80:83], a[164:165], v[196:197], v[80:83]// 00000000A450: D3F30050 0D4389A4
	v_mfma_f32_16x16x32_fp8_fp8 v[80:83], a[166:167], v[198:199], v[80:83]// 00000000A458: D3F30050 0D438DA6
	ds_read_b64 v[52:53], v4 offset:256                        // 00000000A460: D8EC0100 34000004
	ds_read_b64 v[54:55], v4 offset:384                        // 00000000A468: D8EC0180 36000004
	v_mfma_f32_16x16x32_fp8_fp8 v[80:83], a[168:169], v[200:201], v[80:83]// 00000000A470: D3F30050 0D4391A8
	buffer_load_dwordx4 a[36:39], v38, s[24:27], 0 offen offset:1024// 00000000A478: E05C1400 80862426
	v_mfma_f32_16x16x32_fp8_fp8 v[80:83], a[170:171], v[202:203], v[80:83]// 00000000A480: D3F30050 0D4395AA
	ds_read_b64 v[56:57], v4 offset:512                        // 00000000A488: D8EC0200 38000004
	ds_read_b64 v[58:59], v4 offset:640                        // 00000000A490: D8EC0280 3A000004
	v_mfma_f32_16x16x32_fp8_fp8 v[80:83], a[172:173], v[204:205], v[80:83]// 00000000A498: D3F30050 0D4399AC
	v_mfma_f32_16x16x32_fp8_fp8 v[80:83], a[174:175], v[206:207], v[80:83]// 00000000A4A0: D3F30050 0D439DAE
	ds_read_b64 v[60:61], v4 offset:768                        // 00000000A4A8: D8EC0300 3C000004
	ds_read_b64 v[62:63], v4 offset:896                        // 00000000A4B0: D8EC0380 3E000004
	s_waitcnt lgkmcnt(0)                                       // 00000000A4B8: BF8CC07F
	v_mov_b32_e32 v22, 0x358637bd                              // 00000000A4BC: 7E2C02FF 358637BD
	v_mov_b32_e32 v23, 0x358637bd                              // 00000000A4C4: 7E2E02FF 358637BD
	v_max3_f32 v22, |v48|, |v50|, v22                          // 00000000A4CC: D1D30316 045A6530
	v_max3_f32 v23, |v49|, |v51|, v23                          // 00000000A4D4: D1D30317 045E6731
	v_max3_f32 v22, |v52|, |v54|, v22                          // 00000000A4DC: D1D30316 045A6D34
	v_max3_f32 v23, |v53|, |v55|, v23                          // 00000000A4E4: D1D30317 045E6F35
	v_max3_f32 v22, |v56|, |v58|, v22                          // 00000000A4EC: D1D30316 045A7538
	v_max3_f32 v23, |v57|, |v59|, v23                          // 00000000A4F4: D1D30317 045E7739
	v_max3_f32 v22, |v60|, |v62|, v22                          // 00000000A4FC: D1D30316 045A7D3C
	v_max3_f32 v23, |v61|, |v63|, v23                          // 00000000A504: D1D30317 045E7F3D
	v_mfma_f32_16x16x32_fp8_fp8 v[84:87], a[160:161], v[208:209], v[84:87]// 00000000A50C: D3F30054 0D53A1A0
	buffer_load_dwordx4 a[40:43], v38, s[24:27], 0 offen offset:2048// 00000000A514: E05C1800 80862826
	v_mfma_f32_16x16x32_fp8_fp8 v[84:87], a[162:163], v[210:211], v[84:87]// 00000000A51C: D3F30054 0D53A5A2
	ds_read_b64 v[48:49], v4 offset:1024                       // 00000000A524: D8EC0400 30000004
	ds_read_b64 v[50:51], v4 offset:1152                       // 00000000A52C: D8EC0480 32000004
	v_mfma_f32_16x16x32_fp8_fp8 v[84:87], a[164:165], v[212:213], v[84:87]// 00000000A534: D3F30054 0D53A9A4
	v_mfma_f32_16x16x32_fp8_fp8 v[84:87], a[166:167], v[214:215], v[84:87]// 00000000A53C: D3F30054 0D53ADA6
	ds_read_b64 v[52:53], v4 offset:1280                       // 00000000A544: D8EC0500 34000004
	ds_read_b64 v[54:55], v4 offset:1408                       // 00000000A54C: D8EC0580 36000004
	v_mfma_f32_16x16x32_fp8_fp8 v[84:87], a[168:169], v[216:217], v[84:87]// 00000000A554: D3F30054 0D53B1A8
	buffer_load_dwordx4 a[44:47], v38, s[24:27], 0 offen offset:3072// 00000000A55C: E05C1C00 80862C26
	v_mfma_f32_16x16x32_fp8_fp8 v[84:87], a[170:171], v[218:219], v[84:87]// 00000000A564: D3F30054 0D53B5AA
	ds_read_b64 v[56:57], v4 offset:1536                       // 00000000A56C: D8EC0600 38000004
	ds_read_b64 v[58:59], v4 offset:1664                       // 00000000A574: D8EC0680 3A000004
	v_mfma_f32_16x16x32_fp8_fp8 v[84:87], a[172:173], v[220:221], v[84:87]// 00000000A57C: D3F30054 0D53B9AC
	v_mfma_f32_16x16x32_fp8_fp8 v[84:87], a[174:175], v[222:223], v[84:87]// 00000000A584: D3F30054 0D53BDAE
	ds_read_b64 v[60:61], v4 offset:1792                       // 00000000A58C: D8EC0700 3C000004
	ds_read_b64 v[62:63], v4 offset:1920                       // 00000000A594: D8EC0780 3E000004
	s_waitcnt vmcnt(28)                                        // 00000000A59C: BF8C4F7C
	v_mfma_f32_16x16x32_fp8_fp8 v[88:91], a[176:177], v[192:193], v[88:91]// 00000000A5A0: D3F30058 0D6381B0
	buffer_load_dwordx4 a[48:51], v39, s[24:27], 0 offen       // 00000000A5A8: E05C1000 80863027
	v_mfma_f32_16x16x32_fp8_fp8 v[88:91], a[178:179], v[194:195], v[88:91]// 00000000A5B0: D3F30058 0D6385B2
	v_mfma_f32_16x16x32_fp8_fp8 v[88:91], a[180:181], v[196:197], v[88:91]// 00000000A5B8: D3F30058 0D6389B4
	v_mfma_f32_16x16x32_fp8_fp8 v[88:91], a[182:183], v[198:199], v[88:91]// 00000000A5C0: D3F30058 0D638DB6
	v_mfma_f32_16x16x32_fp8_fp8 v[88:91], a[184:185], v[200:201], v[88:91]// 00000000A5C8: D3F30058 0D6391B8
	buffer_load_dwordx4 a[52:55], v39, s[24:27], 0 offen offset:1024// 00000000A5D0: E05C1400 80863427
	v_mfma_f32_16x16x32_fp8_fp8 v[88:91], a[186:187], v[202:203], v[88:91]// 00000000A5D8: D3F30058 0D6395BA
	v_mfma_f32_16x16x32_fp8_fp8 v[88:91], a[188:189], v[204:205], v[88:91]// 00000000A5E0: D3F30058 0D6399BC
	v_mfma_f32_16x16x32_fp8_fp8 v[88:91], a[190:191], v[206:207], v[88:91]// 00000000A5E8: D3F30058 0D639DBE
	s_waitcnt lgkmcnt(0)                                       // 00000000A5F0: BF8CC07F
	v_max3_f32 v22, |v48|, |v50|, v22                          // 00000000A5F4: D1D30316 045A6530
	v_max3_f32 v23, |v49|, |v51|, v23                          // 00000000A5FC: D1D30317 045E6731
	v_max3_f32 v22, |v52|, |v54|, v22                          // 00000000A604: D1D30316 045A6D34
	v_max3_f32 v23, |v53|, |v55|, v23                          // 00000000A60C: D1D30317 045E6F35
	v_max3_f32 v22, |v56|, |v58|, v22                          // 00000000A614: D1D30316 045A7538
	v_max3_f32 v23, |v57|, |v59|, v23                          // 00000000A61C: D1D30317 045E7739
	v_max3_f32 v22, |v60|, |v62|, v22                          // 00000000A624: D1D30316 045A7D3C
	v_max3_f32 v23, |v61|, |v63|, v23                          // 00000000A62C: D1D30317 045E7F3D
	v_mov_b32_e32 v44, 0x43700000                              // 00000000A634: 7E5802FF 43700000
	v_rcp_f32_e32 v22, v22                                     // 00000000A63C: 7E2C4516
	v_rcp_f32_e32 v23, v23                                     // 00000000A640: 7E2E4517
	s_nop 1                                                    // 00000000A644: BF800001
	v_mul_f32_e32 v22, v44, v22                                // 00000000A648: 0A2C2D2C
	v_mul_f32_e32 v23, v44, v23                                // 00000000A64C: 0A2E2F2C
	v_rcp_f32_e32 v26, v22                                     // 00000000A650: 7E344516
	v_rcp_f32_e32 v27, v23                                     // 00000000A654: 7E364517
	v_mov_b32_e32 v44, v22                                     // 00000000A658: 7E580316
	v_mov_b32_e32 v45, v22                                     // 00000000A65C: 7E5A0316
	v_mov_b32_e32 v46, v23                                     // 00000000A660: 7E5C0317
	v_mov_b32_e32 v47, v23                                     // 00000000A664: 7E5E0317
	v_mfma_f32_16x16x32_fp8_fp8 v[92:95], a[176:177], v[208:209], v[92:95]// 00000000A668: D3F3005C 0D73A1B0
	buffer_load_dwordx4 a[56:59], v39, s[24:27], 0 offen offset:2048// 00000000A670: E05C1800 80863827
	v_mfma_f32_16x16x32_fp8_fp8 v[92:95], a[178:179], v[210:211], v[92:95]// 00000000A678: D3F3005C 0D73A5B2
	v_mfma_f32_16x16x32_fp8_fp8 v[92:95], a[180:181], v[212:213], v[92:95]// 00000000A680: D3F3005C 0D73A9B4
	v_mfma_f32_16x16x32_fp8_fp8 v[92:95], a[182:183], v[214:215], v[92:95]// 00000000A688: D3F3005C 0D73ADB6
	v_mfma_f32_16x16x32_fp8_fp8 v[92:95], a[184:185], v[216:217], v[92:95]// 00000000A690: D3F3005C 0D73B1B8
	buffer_load_dwordx4 a[60:63], v39, s[24:27], 0 offen offset:3072// 00000000A698: E05C1C00 80863C27
	v_mfma_f32_16x16x32_fp8_fp8 v[92:95], a[186:187], v[218:219], v[92:95]// 00000000A6A0: D3F3005C 0D73B5BA
	v_mfma_f32_16x16x32_fp8_fp8 v[92:95], a[188:189], v[220:221], v[92:95]// 00000000A6A8: D3F3005C 0D73B9BC
	v_mfma_f32_16x16x32_fp8_fp8 v[92:95], a[190:191], v[222:223], v[92:95]// 00000000A6B0: D3F3005C 0D73BDBE
	v_pk_mul_f32 v[224:225], v[44:45], v[224:225]              // 00000000A6B8: D3B140E0 1803C12C
	v_pk_mul_f32 v[226:227], v[44:45], v[226:227]              // 00000000A6C0: D3B140E2 1803C52C
	v_cvt_pk_fp8_f32 v224, v224, v225                          // 00000000A6C8: D2A200E0 0003C3E0
	v_cvt_pk_fp8_f32 v224, v226, v227 op_sel:[0,0,1]           // 00000000A6D0: D2A240E0 0003C7E2
	v_pk_mul_f32 v[228:229], v[46:47], v[228:229]              // 00000000A6D8: D3B140E4 1803C92E
	v_pk_mul_f32 v[230:231], v[46:47], v[230:231]              // 00000000A6E0: D3B140E6 1803CD2E
	v_cvt_pk_fp8_f32 v225, v228, v229                          // 00000000A6E8: D2A200E1 0003CBE4
	v_cvt_pk_fp8_f32 v225, v230, v231 op_sel:[0,0,1]           // 00000000A6F0: D2A240E1 0003CFE6
	s_waitcnt vmcnt(28)                                        // 00000000A6F8: BF8C4F7C
	v_mfma_f32_16x16x32_fp8_fp8 v[96:99], a[192:193], v[192:193], v[96:99]// 00000000A6FC: D3F30060 0D8381C0
	buffer_load_dwordx4 a[64:67], v40, s[24:27], 0 offen       // 00000000A704: E05C1000 80864028
	v_mfma_f32_16x16x32_fp8_fp8 v[96:99], a[194:195], v[194:195], v[96:99]// 00000000A70C: D3F30060 0D8385C2
	v_mfma_f32_16x16x32_fp8_fp8 v[96:99], a[196:197], v[196:197], v[96:99]// 00000000A714: D3F30060 0D8389C4
	v_mfma_f32_16x16x32_fp8_fp8 v[96:99], a[198:199], v[198:199], v[96:99]// 00000000A71C: D3F30060 0D838DC6
	v_mfma_f32_16x16x32_fp8_fp8 v[96:99], a[200:201], v[200:201], v[96:99]// 00000000A724: D3F30060 0D8391C8
	buffer_load_dwordx4 a[68:71], v40, s[24:27], 0 offen offset:1024// 00000000A72C: E05C1400 80864428
	v_mfma_f32_16x16x32_fp8_fp8 v[96:99], a[202:203], v[202:203], v[96:99]// 00000000A734: D3F30060 0D8395CA
	v_mfma_f32_16x16x32_fp8_fp8 v[96:99], a[204:205], v[204:205], v[96:99]// 00000000A73C: D3F30060 0D8399CC
	v_mfma_f32_16x16x32_fp8_fp8 v[96:99], a[206:207], v[206:207], v[96:99]// 00000000A744: D3F30060 0D839DCE
	v_pk_mul_f32 v[232:233], v[44:45], v[232:233]              // 00000000A74C: D3B140E8 1803D12C
	v_pk_mul_f32 v[234:235], v[44:45], v[234:235]              // 00000000A754: D3B140EA 1803D52C
	v_cvt_pk_fp8_f32 v226, v232, v233                          // 00000000A75C: D2A200E2 0003D3E8
	v_cvt_pk_fp8_f32 v226, v234, v235 op_sel:[0,0,1]           // 00000000A764: D2A240E2 0003D7EA
	v_pk_mul_f32 v[236:237], v[46:47], v[236:237]              // 00000000A76C: D3B140EC 1803D92E
	v_pk_mul_f32 v[238:239], v[46:47], v[238:239]              // 00000000A774: D3B140EE 1803DD2E
	v_cvt_pk_fp8_f32 v227, v236, v237                          // 00000000A77C: D2A200E3 0003DBEC
	v_cvt_pk_fp8_f32 v227, v238, v239 op_sel:[0,0,1]           // 00000000A784: D2A240E3 0003DFEE
	v_mfma_f32_16x16x32_fp8_fp8 v[100:103], a[192:193], v[208:209], v[100:103]// 00000000A78C: D3F30064 0D93A1C0
	buffer_load_dwordx4 a[72:75], v40, s[24:27], 0 offen offset:2048// 00000000A794: E05C1800 80864828
	v_mfma_f32_16x16x32_fp8_fp8 v[100:103], a[194:195], v[210:211], v[100:103]// 00000000A79C: D3F30064 0D93A5C2
	ds_write_b32 v12, v224 offset:2048                         // 00000000A7A4: D81A0800 0000E00C
	v_mfma_f32_16x16x32_fp8_fp8 v[100:103], a[196:197], v[212:213], v[100:103]// 00000000A7AC: D3F30064 0D93A9C4
	v_mfma_f32_16x16x32_fp8_fp8 v[100:103], a[198:199], v[214:215], v[100:103]// 00000000A7B4: D3F30064 0D93ADC6
	ds_write_b32 v12, v225 offset:6144                         // 00000000A7BC: D81A1800 0000E10C
	v_mfma_f32_16x16x32_fp8_fp8 v[100:103], a[200:201], v[216:217], v[100:103]// 00000000A7C4: D3F30064 0D93B1C8
	buffer_load_dwordx4 a[76:79], v40, s[24:27], 0 offen offset:3072// 00000000A7CC: E05C1C00 80864C28
	v_mfma_f32_16x16x32_fp8_fp8 v[100:103], a[202:203], v[218:219], v[100:103]// 00000000A7D4: D3F30064 0D93B5CA
	ds_write_b32 v12, v226 offset:3072                         // 00000000A7DC: D81A0C00 0000E20C
	v_mfma_f32_16x16x32_fp8_fp8 v[100:103], a[204:205], v[220:221], v[100:103]// 00000000A7E4: D3F30064 0D93B9CC
	v_mfma_f32_16x16x32_fp8_fp8 v[100:103], a[206:207], v[222:223], v[100:103]// 00000000A7EC: D3F30064 0D93BDCE
	ds_write_b32 v12, v227 offset:7168                         // 00000000A7F4: D81A1C00 0000E30C
	v_pk_mul_f32 v[240:241], v[44:45], v[240:241]              // 00000000A7FC: D3B140F0 1803E12C
	v_pk_mul_f32 v[242:243], v[44:45], v[242:243]              // 00000000A804: D3B140F2 1803E52C
	v_cvt_pk_fp8_f32 v228, v240, v241                          // 00000000A80C: D2A200E4 0003E3F0
	v_cvt_pk_fp8_f32 v228, v242, v243 op_sel:[0,0,1]           // 00000000A814: D2A240E4 0003E7F2
	v_pk_mul_f32 v[244:245], v[46:47], v[244:245]              // 00000000A81C: D3B140F4 1803E92E
	v_pk_mul_f32 v[246:247], v[46:47], v[246:247]              // 00000000A824: D3B140F6 1803ED2E
	v_cvt_pk_fp8_f32 v229, v244, v245                          // 00000000A82C: D2A200E5 0003EBF4
	v_cvt_pk_fp8_f32 v229, v246, v247 op_sel:[0,0,1]           // 00000000A834: D2A240E5 0003EFF6
	s_waitcnt vmcnt(28)                                        // 00000000A83C: BF8C4F7C
	v_mfma_f32_16x16x32_fp8_fp8 v[104:107], a[208:209], v[192:193], v[104:107]// 00000000A840: D3F30068 0DA381D0
	buffer_load_dwordx4 a[80:83], v41, s[24:27], 0 offen       // 00000000A848: E05C1000 80865029
	v_mfma_f32_16x16x32_fp8_fp8 v[104:107], a[210:211], v[194:195], v[104:107]// 00000000A850: D3F30068 0DA385D2
	v_mfma_f32_16x16x32_fp8_fp8 v[104:107], a[212:213], v[196:197], v[104:107]// 00000000A858: D3F30068 0DA389D4
	v_mfma_f32_16x16x32_fp8_fp8 v[104:107], a[214:215], v[198:199], v[104:107]// 00000000A860: D3F30068 0DA38DD6
	v_mfma_f32_16x16x32_fp8_fp8 v[104:107], a[216:217], v[200:201], v[104:107]// 00000000A868: D3F30068 0DA391D8
	buffer_load_dwordx4 a[84:87], v41, s[24:27], 0 offen offset:1024// 00000000A870: E05C1400 80865429
	v_mfma_f32_16x16x32_fp8_fp8 v[104:107], a[218:219], v[202:203], v[104:107]// 00000000A878: D3F30068 0DA395DA
	v_mfma_f32_16x16x32_fp8_fp8 v[104:107], a[220:221], v[204:205], v[104:107]// 00000000A880: D3F30068 0DA399DC
	v_mfma_f32_16x16x32_fp8_fp8 v[104:107], a[222:223], v[206:207], v[104:107]// 00000000A888: D3F30068 0DA39DDE
	v_pk_mul_f32 v[248:249], v[44:45], v[248:249]              // 00000000A890: D3B140F8 1803F12C
	v_pk_mul_f32 v[250:251], v[44:45], v[250:251]              // 00000000A898: D3B140FA 1803F52C
	v_cvt_pk_fp8_f32 v230, v248, v249                          // 00000000A8A0: D2A200E6 0003F3F8
	v_cvt_pk_fp8_f32 v230, v250, v251 op_sel:[0,0,1]           // 00000000A8A8: D2A240E6 0003F7FA
	v_pk_mul_f32 v[252:253], v[46:47], v[252:253]              // 00000000A8B0: D3B140FC 1803F92E
	v_pk_mul_f32 v[254:255], v[46:47], v[254:255]              // 00000000A8B8: D3B140FE 1803FD2E
	v_cvt_pk_fp8_f32 v231, v252, v253                          // 00000000A8C0: D2A200E7 0003FBFC
	v_cvt_pk_fp8_f32 v231, v254, v255 op_sel:[0,0,1]           // 00000000A8C8: D2A240E7 0003FFFE
	v_mfma_f32_16x16x32_fp8_fp8 v[108:111], a[208:209], v[208:209], v[108:111]// 00000000A8D0: D3F3006C 0DB3A1D0
	buffer_load_dwordx4 a[88:91], v41, s[24:27], 0 offen offset:2048// 00000000A8D8: E05C1800 80865829
	v_mfma_f32_16x16x32_fp8_fp8 v[108:111], a[210:211], v[210:211], v[108:111]// 00000000A8E0: D3F3006C 0DB3A5D2
	ds_write_b32 v12, v228 offset:4096                         // 00000000A8E8: D81A1000 0000E40C
	v_mfma_f32_16x16x32_fp8_fp8 v[108:111], a[212:213], v[212:213], v[108:111]// 00000000A8F0: D3F3006C 0DB3A9D4
	v_mfma_f32_16x16x32_fp8_fp8 v[108:111], a[214:215], v[214:215], v[108:111]// 00000000A8F8: D3F3006C 0DB3ADD6
	ds_write_b32 v12, v229 offset:8192                         // 00000000A900: D81A2000 0000E50C
	v_mfma_f32_16x16x32_fp8_fp8 v[108:111], a[216:217], v[216:217], v[108:111]// 00000000A908: D3F3006C 0DB3B1D8
	buffer_load_dwordx4 a[92:95], v41, s[24:27], 0 offen offset:3072// 00000000A910: E05C1C00 80865C29
	v_mfma_f32_16x16x32_fp8_fp8 v[108:111], a[218:219], v[218:219], v[108:111]// 00000000A918: D3F3006C 0DB3B5DA
	ds_write_b32 v12, v230 offset:5120                         // 00000000A920: D81A1400 0000E60C
	v_mfma_f32_16x16x32_fp8_fp8 v[108:111], a[220:221], v[220:221], v[108:111]// 00000000A928: D3F3006C 0DB3B9DC
	v_mfma_f32_16x16x32_fp8_fp8 v[108:111], a[222:223], v[222:223], v[108:111]// 00000000A930: D3F3006C 0DB3BDDE
	ds_write_b32 v12, v231 offset:9216                         // 00000000A938: D81A2400 0000E70C
	s_waitcnt lgkmcnt(0)                                       // 00000000A940: BF8CC07F
	s_barrier                                                  // 00000000A944: BF8A0000
	s_waitcnt vmcnt(28)                                        // 00000000A948: BF8C4F7C
	v_mfma_f32_16x16x32_fp8_fp8 v[112:115], a[224:225], v[192:193], v[112:115]// 00000000A94C: D3F30070 0DC381E0
	buffer_load_dwordx4 a[96:99], v42, s[24:27], 0 offen       // 00000000A954: E05C1000 8086602A
	v_mfma_f32_16x16x32_fp8_fp8 v[112:115], a[226:227], v[194:195], v[112:115]// 00000000A95C: D3F30070 0DC385E2
	ds_read_b64 v[224:225], v13 offset:2048                    // 00000000A964: D8EC0800 E000000D
	ds_read_b64 v[226:227], v13 offset:2176                    // 00000000A96C: D8EC0880 E200000D
	v_mfma_f32_16x16x32_fp8_fp8 v[112:115], a[228:229], v[196:197], v[112:115]// 00000000A974: D3F30070 0DC389E4
	v_mfma_f32_16x16x32_fp8_fp8 v[112:115], a[230:231], v[198:199], v[112:115]// 00000000A97C: D3F30070 0DC38DE6
	ds_read_b64 v[228:229], v13 offset:3072                    // 00000000A984: D8EC0C00 E400000D
	ds_read_b64 v[230:231], v13 offset:3200                    // 00000000A98C: D8EC0C80 E600000D
	v_mfma_f32_16x16x32_fp8_fp8 v[112:115], a[232:233], v[200:201], v[112:115]// 00000000A994: D3F30070 0DC391E8
	buffer_load_dwordx4 a[100:103], v42, s[24:27], 0 offen offset:1024// 00000000A99C: E05C1400 8086642A
	v_mfma_f32_16x16x32_fp8_fp8 v[112:115], a[234:235], v[202:203], v[112:115]// 00000000A9A4: D3F30070 0DC395EA
	ds_read_b64 v[232:233], v13 offset:4096                    // 00000000A9AC: D8EC1000 E800000D
	ds_read_b64 v[234:235], v13 offset:4224                    // 00000000A9B4: D8EC1080 EA00000D
	v_mfma_f32_16x16x32_fp8_fp8 v[112:115], a[236:237], v[204:205], v[112:115]// 00000000A9BC: D3F30070 0DC399EC
	v_mfma_f32_16x16x32_fp8_fp8 v[112:115], a[238:239], v[206:207], v[112:115]// 00000000A9C4: D3F30070 0DC39DEE
	ds_read_b64 v[236:237], v13 offset:5120                    // 00000000A9CC: D8EC1400 EC00000D
	ds_read_b64 v[238:239], v13 offset:5248                    // 00000000A9D4: D8EC1480 EE00000D
	v_mfma_f32_16x16x32_fp8_fp8 v[116:119], a[224:225], v[208:209], v[116:119]// 00000000A9DC: D3F30074 0DD3A1E0
	buffer_load_dwordx4 a[104:107], v42, s[24:27], 0 offen offset:2048// 00000000A9E4: E05C1800 8086682A
	v_mfma_f32_16x16x32_fp8_fp8 v[116:119], a[226:227], v[210:211], v[116:119]// 00000000A9EC: D3F30074 0DD3A5E2
	ds_read_b64 v[240:241], v13 offset:6144                    // 00000000A9F4: D8EC1800 F000000D
	ds_read_b64 v[242:243], v13 offset:6272                    // 00000000A9FC: D8EC1880 F200000D
	v_mfma_f32_16x16x32_fp8_fp8 v[116:119], a[228:229], v[212:213], v[116:119]// 00000000AA04: D3F30074 0DD3A9E4
	v_mfma_f32_16x16x32_fp8_fp8 v[116:119], a[230:231], v[214:215], v[116:119]// 00000000AA0C: D3F30074 0DD3ADE6
	ds_read_b64 v[244:245], v13 offset:7168                    // 00000000AA14: D8EC1C00 F400000D
	ds_read_b64 v[246:247], v13 offset:7296                    // 00000000AA1C: D8EC1C80 F600000D
	v_mfma_f32_16x16x32_fp8_fp8 v[116:119], a[232:233], v[216:217], v[116:119]// 00000000AA24: D3F30074 0DD3B1E8
	buffer_load_dwordx4 a[108:111], v42, s[24:27], 0 offen offset:3072// 00000000AA2C: E05C1C00 80866C2A
	v_mfma_f32_16x16x32_fp8_fp8 v[116:119], a[234:235], v[218:219], v[116:119]// 00000000AA34: D3F30074 0DD3B5EA
	ds_read_b64 v[248:249], v13 offset:8192                    // 00000000AA3C: D8EC2000 F800000D
	ds_read_b64 v[250:251], v13 offset:8320                    // 00000000AA44: D8EC2080 FA00000D
	v_mfma_f32_16x16x32_fp8_fp8 v[116:119], a[236:237], v[220:221], v[116:119]// 00000000AA4C: D3F30074 0DD3B9EC
	v_mfma_f32_16x16x32_fp8_fp8 v[116:119], a[238:239], v[222:223], v[116:119]// 00000000AA54: D3F30074 0DD3BDEE
	ds_read_b64 v[252:253], v13 offset:9216                    // 00000000AA5C: D8EC2400 FC00000D
	ds_read_b64 v[254:255], v13 offset:9344                    // 00000000AA64: D8EC2480 FE00000D
	s_waitcnt vmcnt(28)                                        // 00000000AA6C: BF8C4F7C
	v_mfma_f32_16x16x32_fp8_fp8 v[120:123], a[240:241], v[192:193], v[120:123]// 00000000AA70: D3F30078 0DE381F0
	buffer_load_dwordx4 a[112:115], v43, s[24:27], 0 offen     // 00000000AA78: E05C1000 8086702B
	v_mfma_f32_16x16x32_fp8_fp8 v[120:123], a[242:243], v[194:195], v[120:123]// 00000000AA80: D3F30078 0DE385F2
	v_mfma_f32_16x16x32_fp8_fp8 v[120:123], a[244:245], v[196:197], v[120:123]// 00000000AA88: D3F30078 0DE389F4
	v_mfma_f32_16x16x32_fp8_fp8 v[120:123], a[246:247], v[198:199], v[120:123]// 00000000AA90: D3F30078 0DE38DF6
	v_mfma_f32_16x16x32_fp8_fp8 v[120:123], a[248:249], v[200:201], v[120:123]// 00000000AA98: D3F30078 0DE391F8
	buffer_load_dwordx4 a[116:119], v43, s[24:27], 0 offen offset:1024// 00000000AAA0: E05C1400 8086742B
	v_mfma_f32_16x16x32_fp8_fp8 v[120:123], a[250:251], v[202:203], v[120:123]// 00000000AAA8: D3F30078 0DE395FA
	v_mfma_f32_16x16x32_fp8_fp8 v[120:123], a[252:253], v[204:205], v[120:123]// 00000000AAB0: D3F30078 0DE399FC
	v_mfma_f32_16x16x32_fp8_fp8 v[120:123], a[254:255], v[206:207], v[120:123]// 00000000AAB8: D3F30078 0DE39DFE
	v_mfma_f32_16x16x32_fp8_fp8 v[124:127], a[240:241], v[208:209], v[124:127]// 00000000AAC0: D3F3007C 0DF3A1F0
	buffer_load_dwordx4 a[120:123], v43, s[24:27], 0 offen offset:2048// 00000000AAC8: E05C1800 8086782B
	v_mfma_f32_16x16x32_fp8_fp8 v[124:127], a[242:243], v[210:211], v[124:127]// 00000000AAD0: D3F3007C 0DF3A5F2
	v_mfma_f32_16x16x32_fp8_fp8 v[124:127], a[244:245], v[212:213], v[124:127]// 00000000AAD8: D3F3007C 0DF3A9F4
	v_mfma_f32_16x16x32_fp8_fp8 v[124:127], a[246:247], v[214:215], v[124:127]// 00000000AAE0: D3F3007C 0DF3ADF6
	v_mfma_f32_16x16x32_fp8_fp8 v[124:127], a[248:249], v[216:217], v[124:127]// 00000000AAE8: D3F3007C 0DF3B1F8
	buffer_load_dwordx4 a[124:127], v43, s[24:27], 0 offen offset:3072// 00000000AAF0: E05C1C00 80867C2B
	v_mfma_f32_16x16x32_fp8_fp8 v[124:127], a[250:251], v[218:219], v[124:127]// 00000000AAF8: D3F3007C 0DF3B5FA
	v_mfma_f32_16x16x32_fp8_fp8 v[124:127], a[252:253], v[220:221], v[124:127]// 00000000AB00: D3F3007C 0DF3B9FC
	v_mfma_f32_16x16x32_fp8_fp8 v[124:127], a[254:255], v[222:223], v[124:127]// 00000000AB08: D3F3007C 0DF3BDFE
	s_add_u32 s60, 0x200, s80                                  // 00000000AB10: 803C50FF 00000200
	s_cmp_lt_u32 s60, s81                                      // 00000000AB18: BF0A513C
	s_cselect_b32 s57, s57, 0                                  // 00000000AB1C: 85398039
	s_cselect_b32 s91, s91, 0                                  // 00000000AB20: 855B805B
	s_add_u32 s60, 0x200, s80                                  // 00000000AB24: 803C50FF 00000200
	s_cmp_lt_u32 s60, s81                                      // 00000000AB2C: BF0A513C
	s_cselect_b32 s58, s58, 0                                  // 00000000AB30: 853A803A
	s_add_u32 s20, s57, s20                                    // 00000000AB34: 80141439
	s_addc_u32 s21, 0, s21                                     // 00000000AB38: 82151580
	s_add_u32 s28, s91, s28                                    // 00000000AB3C: 801C1C5B
	s_addc_u32 s29, 0, s29                                     // 00000000AB40: 821D1D80
	s_add_u32 s24, s58, s24                                    // 00000000AB44: 8018183A
	s_addc_u32 s25, 0, s25                                     // 00000000AB48: 82191980
	s_add_u32 s92, s90, s92                                    // 00000000AB4C: 805C5C5A
	s_addc_u32 s93, 0, s93                                     // 00000000AB50: 825D5D80
	v_mov_b32_e32 v44, v24                                     // 00000000AB54: 7E580318
	v_mov_b32_e32 v46, v25                                     // 00000000AB58: 7E5C0319
	v_mov_b32_e32 v45, v44                                     // 00000000AB5C: 7E5A032C
	v_mov_b32_e32 v47, v46                                     // 00000000AB60: 7E5E032E
	v_pk_mul_f32 v[64:65], v[44:45], v[64:65]                  // 00000000AB64: D3B14040 1802812C
	v_pk_mul_f32 v[66:67], v[44:45], v[66:67]                  // 00000000AB6C: D3B14042 1802852C
	v_pk_mul_f32 v[68:69], v[46:47], v[68:69]                  // 00000000AB74: D3B14044 1802892E
	v_pk_mul_f32 v[70:71], v[46:47], v[70:71]                  // 00000000AB7C: D3B14046 18028D2E
	v_pk_mul_f32 v[72:73], v[44:45], v[72:73]                  // 00000000AB84: D3B14048 1802912C
	v_pk_mul_f32 v[74:75], v[44:45], v[74:75]                  // 00000000AB8C: D3B1404A 1802952C
	v_pk_mul_f32 v[76:77], v[46:47], v[76:77]                  // 00000000AB94: D3B1404C 1802992E
	v_pk_mul_f32 v[78:79], v[46:47], v[78:79]                  // 00000000AB9C: D3B1404E 18029D2E
	v_pk_mul_f32 v[80:81], v[44:45], v[80:81]                  // 00000000ABA4: D3B14050 1802A12C
	v_pk_mul_f32 v[82:83], v[44:45], v[82:83]                  // 00000000ABAC: D3B14052 1802A52C
	v_pk_mul_f32 v[84:85], v[46:47], v[84:85]                  // 00000000ABB4: D3B14054 1802A92E
	v_pk_mul_f32 v[86:87], v[46:47], v[86:87]                  // 00000000ABBC: D3B14056 1802AD2E
	v_pk_mul_f32 v[88:89], v[44:45], v[88:89]                  // 00000000ABC4: D3B14058 1802B12C
	v_pk_mul_f32 v[90:91], v[44:45], v[90:91]                  // 00000000ABCC: D3B1405A 1802B52C
	v_pk_mul_f32 v[92:93], v[46:47], v[92:93]                  // 00000000ABD4: D3B1405C 1802B92E
	v_pk_mul_f32 v[94:95], v[46:47], v[94:95]                  // 00000000ABDC: D3B1405E 1802BD2E
	v_pk_mul_f32 v[96:97], v[44:45], v[96:97]                  // 00000000ABE4: D3B14060 1802C12C
	v_pk_mul_f32 v[98:99], v[44:45], v[98:99]                  // 00000000ABEC: D3B14062 1802C52C
	v_pk_mul_f32 v[100:101], v[46:47], v[100:101]              // 00000000ABF4: D3B14064 1802C92E
	v_pk_mul_f32 v[102:103], v[46:47], v[102:103]              // 00000000ABFC: D3B14066 1802CD2E
	v_pk_mul_f32 v[104:105], v[44:45], v[104:105]              // 00000000AC04: D3B14068 1802D12C
	v_pk_mul_f32 v[106:107], v[44:45], v[106:107]              // 00000000AC0C: D3B1406A 1802D52C
	v_pk_mul_f32 v[108:109], v[46:47], v[108:109]              // 00000000AC14: D3B1406C 1802D92E
	v_pk_mul_f32 v[110:111], v[46:47], v[110:111]              // 00000000AC1C: D3B1406E 1802DD2E
	v_pk_mul_f32 v[112:113], v[44:45], v[112:113]              // 00000000AC24: D3B14070 1802E12C
	v_pk_mul_f32 v[114:115], v[44:45], v[114:115]              // 00000000AC2C: D3B14072 1802E52C
	v_pk_mul_f32 v[116:117], v[46:47], v[116:117]              // 00000000AC34: D3B14074 1802E92E
	v_pk_mul_f32 v[118:119], v[46:47], v[118:119]              // 00000000AC3C: D3B14076 1802ED2E
	v_pk_mul_f32 v[120:121], v[44:45], v[120:121]              // 00000000AC44: D3B14078 1802F12C
	v_pk_mul_f32 v[122:123], v[44:45], v[122:123]              // 00000000AC4C: D3B1407A 1802F52C
	v_pk_mul_f32 v[124:125], v[46:47], v[124:125]              // 00000000AC54: D3B1407C 1802F92E
	v_pk_mul_f32 v[126:127], v[46:47], v[126:127]              // 00000000AC5C: D3B1407E 1802FD2E
	s_addk_i32 s80, 0x100                                      // 00000000AC64: B7500100
	s_cmp_lt_i32 s80, s81                                      // 00000000AC68: BF045150
	s_cbranch_scc0 label_25B1                                  // 00000000AC6C: BF840555
	v_rcp_f32_e32 v44, v26                                     // 00000000AC70: 7E58451A
	v_rcp_f32_e32 v46, v27                                     // 00000000AC74: 7E5C451B
	v_mov_b32_e32 v45, v44                                     // 00000000AC78: 7E5A032C
	v_mov_b32_e32 v47, v46                                     // 00000000AC7C: 7E5E032E
	v_pk_mul_f32 v[128:129], v[44:45], v[128:129]              // 00000000AC80: D3B14080 1803012C
	v_pk_mul_f32 v[130:131], v[44:45], v[130:131]              // 00000000AC88: D3B14082 1803052C
	v_pk_mul_f32 v[132:133], v[46:47], v[132:133]              // 00000000AC90: D3B14084 1803092E
	v_pk_mul_f32 v[134:135], v[46:47], v[134:135]              // 00000000AC98: D3B14086 18030D2E
	v_pk_mul_f32 v[136:137], v[44:45], v[136:137]              // 00000000ACA0: D3B14088 1803112C
	v_pk_mul_f32 v[138:139], v[44:45], v[138:139]              // 00000000ACA8: D3B1408A 1803152C
	v_pk_mul_f32 v[140:141], v[46:47], v[140:141]              // 00000000ACB0: D3B1408C 1803192E
	v_pk_mul_f32 v[142:143], v[46:47], v[142:143]              // 00000000ACB8: D3B1408E 18031D2E
	v_pk_mul_f32 v[144:145], v[44:45], v[144:145]              // 00000000ACC0: D3B14090 1803212C
	v_pk_mul_f32 v[146:147], v[44:45], v[146:147]              // 00000000ACC8: D3B14092 1803252C
	v_pk_mul_f32 v[148:149], v[46:47], v[148:149]              // 00000000ACD0: D3B14094 1803292E
	v_pk_mul_f32 v[150:151], v[46:47], v[150:151]              // 00000000ACD8: D3B14096 18032D2E
	v_pk_mul_f32 v[152:153], v[44:45], v[152:153]              // 00000000ACE0: D3B14098 1803312C
	v_pk_mul_f32 v[154:155], v[44:45], v[154:155]              // 00000000ACE8: D3B1409A 1803352C
	v_pk_mul_f32 v[156:157], v[46:47], v[156:157]              // 00000000ACF0: D3B1409C 1803392E
	v_pk_mul_f32 v[158:159], v[46:47], v[158:159]              // 00000000ACF8: D3B1409E 18033D2E
	v_pk_mul_f32 v[160:161], v[44:45], v[160:161]              // 00000000AD00: D3B140A0 1803412C
	v_pk_mul_f32 v[162:163], v[44:45], v[162:163]              // 00000000AD08: D3B140A2 1803452C
	v_pk_mul_f32 v[164:165], v[46:47], v[164:165]              // 00000000AD10: D3B140A4 1803492E
	v_pk_mul_f32 v[166:167], v[46:47], v[166:167]              // 00000000AD18: D3B140A6 18034D2E
	v_pk_mul_f32 v[168:169], v[44:45], v[168:169]              // 00000000AD20: D3B140A8 1803512C
	v_pk_mul_f32 v[170:171], v[44:45], v[170:171]              // 00000000AD28: D3B140AA 1803552C
	v_pk_mul_f32 v[172:173], v[46:47], v[172:173]              // 00000000AD30: D3B140AC 1803592E
	v_pk_mul_f32 v[174:175], v[46:47], v[174:175]              // 00000000AD38: D3B140AE 18035D2E
	v_pk_mul_f32 v[176:177], v[44:45], v[176:177]              // 00000000AD40: D3B140B0 1803612C
	v_pk_mul_f32 v[178:179], v[44:45], v[178:179]              // 00000000AD48: D3B140B2 1803652C
	v_pk_mul_f32 v[180:181], v[46:47], v[180:181]              // 00000000AD50: D3B140B4 1803692E
	v_pk_mul_f32 v[182:183], v[46:47], v[182:183]              // 00000000AD58: D3B140B6 18036D2E
	v_pk_mul_f32 v[184:185], v[44:45], v[184:185]              // 00000000AD60: D3B140B8 1803712C
	v_pk_mul_f32 v[186:187], v[44:45], v[186:187]              // 00000000AD68: D3B140BA 1803752C
	v_pk_mul_f32 v[188:189], v[46:47], v[188:189]              // 00000000AD70: D3B140BC 1803792E
	v_pk_mul_f32 v[190:191], v[46:47], v[190:191]              // 00000000AD78: D3B140BE 18037D2E
	s_waitcnt vmcnt(24) lgkmcnt(0)                             // 00000000AD80: BF8C4078
	s_barrier                                                  // 00000000AD84: BF8A0000
	v_mfma_f32_16x16x32_fp8_fp8 v[128:131], a[0:1], v[224:225], v[128:131]// 00000000AD88: D3F30080 0E03C100
	buffer_load_dwordx4 a[128:131], v36, s[92:95], 0 offen     // 00000000AD90: E05C1000 80978024
	v_mfma_f32_16x16x32_fp8_fp8 v[128:131], a[2:3], v[226:227], v[128:131]// 00000000AD98: D3F30080 0E03C502
	v_mfma_f32_16x16x32_fp8_fp8 v[128:131], a[4:5], v[228:229], v[128:131]// 00000000ADA0: D3F30080 0E03C904
	buffer_load_dword v28, s[20:23], 0 offen lds               // 00000000ADA8: E0511000 8005001C
	buffer_load_dword v28, s[20:23], 0 offen offset:256 lds    // 00000000ADB0: E0511100 8005001C
	s_add_u32 m0, 0x820, s50                                   // 00000000ADB8: 807C32FF 00000820
	v_mfma_f32_16x16x32_fp8_fp8 v[128:131], a[6:7], v[230:231], v[128:131]// 00000000ADC0: D3F30080 0E03CD06
	v_mfma_f32_16x16x32_fp8_fp8 v[128:131], a[8:9], v[232:233], v[128:131]// 00000000ADC8: D3F30080 0E03D108
	buffer_load_dwordx4 a[132:135], v36, s[92:95], 0 offen offset:1024// 00000000ADD0: E05C1400 80978424
	v_mfma_f32_16x16x32_fp8_fp8 v[128:131], a[10:11], v[234:235], v[128:131]// 00000000ADD8: D3F30080 0E03D50A
	v_mfma_f32_16x16x32_fp8_fp8 v[128:131], a[12:13], v[236:237], v[128:131]// 00000000ADE0: D3F30080 0E03D90C
	buffer_load_dword v29, s[20:23], 0 offen lds               // 00000000ADE8: E0511000 8005001D
	buffer_load_dword v29, s[20:23], 0 offen offset:256 lds    // 00000000ADF0: E0511100 8005001D
	s_add_u32 m0, 0x1040, s50                                  // 00000000ADF8: 807C32FF 00001040
	v_mfma_f32_16x16x32_fp8_fp8 v[128:131], a[14:15], v[238:239], v[128:131]// 00000000AE00: D3F30080 0E03DD0E
	v_mfma_f32_16x16x32_fp8_fp8 v[132:135], a[0:1], v[240:241], v[132:135]// 00000000AE08: D3F30084 0E13E100
	buffer_load_dwordx4 a[136:139], v36, s[92:95], 0 offen offset:2048// 00000000AE10: E05C1800 80978824
	v_mfma_f32_16x16x32_fp8_fp8 v[132:135], a[2:3], v[242:243], v[132:135]// 00000000AE18: D3F30084 0E13E502
	v_mfma_f32_16x16x32_fp8_fp8 v[132:135], a[4:5], v[244:245], v[132:135]// 00000000AE20: D3F30084 0E13E904
	buffer_load_dword v30, s[20:23], 0 offen lds               // 00000000AE28: E0511000 8005001E
	buffer_load_dword v30, s[20:23], 0 offen offset:256 lds    // 00000000AE30: E0511100 8005001E
	s_add_u32 m0, 0x1860, s50                                  // 00000000AE38: 807C32FF 00001860
	v_mfma_f32_16x16x32_fp8_fp8 v[132:135], a[6:7], v[246:247], v[132:135]// 00000000AE40: D3F30084 0E13ED06
	v_mfma_f32_16x16x32_fp8_fp8 v[132:135], a[8:9], v[248:249], v[132:135]// 00000000AE48: D3F30084 0E13F108
	buffer_load_dwordx4 a[140:143], v36, s[92:95], 0 offen offset:3072// 00000000AE50: E05C1C00 80978C24
	v_mfma_f32_16x16x32_fp8_fp8 v[132:135], a[10:11], v[250:251], v[132:135]// 00000000AE58: D3F30084 0E13F50A
	v_mfma_f32_16x16x32_fp8_fp8 v[132:135], a[12:13], v[252:253], v[132:135]// 00000000AE60: D3F30084 0E13F90C
	buffer_load_dword v31, s[20:23], 0 offen lds               // 00000000AE68: E0511000 8005001F
	buffer_load_dword v31, s[20:23], 0 offen offset:256 lds    // 00000000AE70: E0511100 8005001F
	s_add_u32 m0, 0x2080, s50                                  // 00000000AE78: 807C32FF 00002080
	v_mfma_f32_16x16x32_fp8_fp8 v[132:135], a[14:15], v[254:255], v[132:135]// 00000000AE80: D3F30084 0E13FD0E
	v_mfma_f32_16x16x32_fp8_fp8 v[136:139], a[16:17], v[224:225], v[136:139]// 00000000AE88: D3F30088 0E23C110
	buffer_load_dwordx4 a[144:147], v37, s[92:95], 0 offen     // 00000000AE90: E05C1000 80979025
	v_mfma_f32_16x16x32_fp8_fp8 v[136:139], a[18:19], v[226:227], v[136:139]// 00000000AE98: D3F30088 0E23C512
	v_mfma_f32_16x16x32_fp8_fp8 v[136:139], a[20:21], v[228:229], v[136:139]// 00000000AEA0: D3F30088 0E23C914
	buffer_load_dword v32, s[20:23], 0 offen lds               // 00000000AEA8: E0511000 80050020
	buffer_load_dword v32, s[20:23], 0 offen offset:256 lds    // 00000000AEB0: E0511100 80050020
	s_add_u32 m0, 0x28a0, s50                                  // 00000000AEB8: 807C32FF 000028A0
	v_mfma_f32_16x16x32_fp8_fp8 v[136:139], a[22:23], v[230:231], v[136:139]// 00000000AEC0: D3F30088 0E23CD16
	v_mfma_f32_16x16x32_fp8_fp8 v[136:139], a[24:25], v[232:233], v[136:139]// 00000000AEC8: D3F30088 0E23D118
	buffer_load_dwordx4 a[148:151], v37, s[92:95], 0 offen offset:1024// 00000000AED0: E05C1400 80979425
	v_mfma_f32_16x16x32_fp8_fp8 v[136:139], a[26:27], v[234:235], v[136:139]// 00000000AED8: D3F30088 0E23D51A
	v_mfma_f32_16x16x32_fp8_fp8 v[136:139], a[28:29], v[236:237], v[136:139]// 00000000AEE0: D3F30088 0E23D91C
	buffer_load_dword v33, s[20:23], 0 offen lds               // 00000000AEE8: E0511000 80050021
	buffer_load_dword v33, s[20:23], 0 offen offset:256 lds    // 00000000AEF0: E0511100 80050021
	s_add_u32 m0, 0x30c0, s50                                  // 00000000AEF8: 807C32FF 000030C0
	v_mfma_f32_16x16x32_fp8_fp8 v[136:139], a[30:31], v[238:239], v[136:139]// 00000000AF00: D3F30088 0E23DD1E
	v_mfma_f32_16x16x32_fp8_fp8 v[140:143], a[16:17], v[240:241], v[140:143]// 00000000AF08: D3F3008C 0E33E110
	buffer_load_dwordx4 a[152:155], v37, s[92:95], 0 offen offset:2048// 00000000AF10: E05C1800 80979825
	v_mfma_f32_16x16x32_fp8_fp8 v[140:143], a[18:19], v[242:243], v[140:143]// 00000000AF18: D3F3008C 0E33E512
	v_mfma_f32_16x16x32_fp8_fp8 v[140:143], a[20:21], v[244:245], v[140:143]// 00000000AF20: D3F3008C 0E33E914
	buffer_load_dword v34, s[20:23], 0 offen lds               // 00000000AF28: E0511000 80050022
	buffer_load_dword v34, s[20:23], 0 offen offset:256 lds    // 00000000AF30: E0511100 80050022
	s_add_u32 m0, 0x38e0, s50                                  // 00000000AF38: 807C32FF 000038E0
	v_mfma_f32_16x16x32_fp8_fp8 v[140:143], a[22:23], v[246:247], v[140:143]// 00000000AF40: D3F3008C 0E33ED16
	v_mfma_f32_16x16x32_fp8_fp8 v[140:143], a[24:25], v[248:249], v[140:143]// 00000000AF48: D3F3008C 0E33F118
	buffer_load_dwordx4 a[156:159], v37, s[92:95], 0 offen offset:3072// 00000000AF50: E05C1C00 80979C25
	v_mfma_f32_16x16x32_fp8_fp8 v[140:143], a[26:27], v[250:251], v[140:143]// 00000000AF58: D3F3008C 0E33F51A
	v_mfma_f32_16x16x32_fp8_fp8 v[140:143], a[28:29], v[252:253], v[140:143]// 00000000AF60: D3F3008C 0E33F91C
	buffer_load_dword v35, s[20:23], 0 offen lds               // 00000000AF68: E0511000 80050023
	buffer_load_dword v35, s[20:23], 0 offen offset:256 lds    // 00000000AF70: E0511100 80050023
	s_add_u32 m0, 0, s51                                       // 00000000AF78: 807C3380
	v_mfma_f32_16x16x32_fp8_fp8 v[140:143], a[30:31], v[254:255], v[140:143]// 00000000AF7C: D3F3008C 0E33FD1E
	buffer_load_dword v14, v6, s[28:31], 0 offen               // 00000000AF84: E0501000 80070E06
	s_waitcnt vmcnt(45)                                        // 00000000AF8C: BF8C8F7D
	v_mfma_f32_16x16x32_fp8_fp8 v[144:147], a[32:33], v[224:225], v[144:147]// 00000000AF90: D3F30090 0E43C120
	buffer_load_dwordx4 a[160:163], v38, s[92:95], 0 offen     // 00000000AF98: E05C1000 8097A026
	v_mfma_f32_16x16x32_fp8_fp8 v[144:147], a[34:35], v[226:227], v[144:147]// 00000000AFA0: D3F30090 0E43C522
	v_mfma_f32_16x16x32_fp8_fp8 v[144:147], a[36:37], v[228:229], v[144:147]// 00000000AFA8: D3F30090 0E43C924
	v_mfma_f32_16x16x32_fp8_fp8 v[144:147], a[38:39], v[230:231], v[144:147]// 00000000AFB0: D3F30090 0E43CD26
	v_mfma_f32_16x16x32_fp8_fp8 v[144:147], a[40:41], v[232:233], v[144:147]// 00000000AFB8: D3F30090 0E43D128
	buffer_load_dwordx4 a[164:167], v38, s[92:95], 0 offen offset:1024// 00000000AFC0: E05C1400 8097A426
	v_mfma_f32_16x16x32_fp8_fp8 v[144:147], a[42:43], v[234:235], v[144:147]// 00000000AFC8: D3F30090 0E43D52A
	v_mfma_f32_16x16x32_fp8_fp8 v[144:147], a[44:45], v[236:237], v[144:147]// 00000000AFD0: D3F30090 0E43D92C
	v_mfma_f32_16x16x32_fp8_fp8 v[144:147], a[46:47], v[238:239], v[144:147]// 00000000AFD8: D3F30090 0E43DD2E
	v_mfma_f32_16x16x32_fp8_fp8 v[148:151], a[32:33], v[240:241], v[148:151]// 00000000AFE0: D3F30094 0E53E120
	buffer_load_dwordx4 a[168:171], v38, s[92:95], 0 offen offset:2048// 00000000AFE8: E05C1800 8097A826
	v_mfma_f32_16x16x32_fp8_fp8 v[148:151], a[34:35], v[242:243], v[148:151]// 00000000AFF0: D3F30094 0E53E522
	v_mfma_f32_16x16x32_fp8_fp8 v[148:151], a[36:37], v[244:245], v[148:151]// 00000000AFF8: D3F30094 0E53E924
	v_mfma_f32_16x16x32_fp8_fp8 v[148:151], a[38:39], v[246:247], v[148:151]// 00000000B000: D3F30094 0E53ED26
	v_mfma_f32_16x16x32_fp8_fp8 v[148:151], a[40:41], v[248:249], v[148:151]// 00000000B008: D3F30094 0E53F128
	buffer_load_dwordx4 a[172:175], v38, s[92:95], 0 offen offset:3072// 00000000B010: E05C1C00 8097AC26
	v_mfma_f32_16x16x32_fp8_fp8 v[148:151], a[42:43], v[250:251], v[148:151]// 00000000B018: D3F30094 0E53F52A
	v_mfma_f32_16x16x32_fp8_fp8 v[148:151], a[44:45], v[252:253], v[148:151]// 00000000B020: D3F30094 0E53F92C
	v_mfma_f32_16x16x32_fp8_fp8 v[148:151], a[46:47], v[254:255], v[148:151]// 00000000B028: D3F30094 0E53FD2E
	s_waitcnt vmcnt(45)                                        // 00000000B030: BF8C8F7D
	v_mfma_f32_16x16x32_fp8_fp8 v[152:155], a[48:49], v[224:225], v[152:155]// 00000000B034: D3F30098 0E63C130
	buffer_load_dwordx4 a[176:179], v39, s[92:95], 0 offen     // 00000000B03C: E05C1000 8097B027
	v_mfma_f32_16x16x32_fp8_fp8 v[152:155], a[50:51], v[226:227], v[152:155]// 00000000B044: D3F30098 0E63C532
	v_mfma_f32_16x16x32_fp8_fp8 v[152:155], a[52:53], v[228:229], v[152:155]// 00000000B04C: D3F30098 0E63C934
	v_mfma_f32_16x16x32_fp8_fp8 v[152:155], a[54:55], v[230:231], v[152:155]// 00000000B054: D3F30098 0E63CD36
	v_mfma_f32_16x16x32_fp8_fp8 v[152:155], a[56:57], v[232:233], v[152:155]// 00000000B05C: D3F30098 0E63D138
	buffer_load_dwordx4 a[180:183], v39, s[92:95], 0 offen offset:1024// 00000000B064: E05C1400 8097B427
	v_mfma_f32_16x16x32_fp8_fp8 v[152:155], a[58:59], v[234:235], v[152:155]// 00000000B06C: D3F30098 0E63D53A
	v_mfma_f32_16x16x32_fp8_fp8 v[152:155], a[60:61], v[236:237], v[152:155]// 00000000B074: D3F30098 0E63D93C
	v_mfma_f32_16x16x32_fp8_fp8 v[152:155], a[62:63], v[238:239], v[152:155]// 00000000B07C: D3F30098 0E63DD3E
	v_mfma_f32_16x16x32_fp8_fp8 v[156:159], a[48:49], v[240:241], v[156:159]// 00000000B084: D3F3009C 0E73E130
	buffer_load_dwordx4 a[184:187], v39, s[92:95], 0 offen offset:2048// 00000000B08C: E05C1800 8097B827
	v_mfma_f32_16x16x32_fp8_fp8 v[156:159], a[50:51], v[242:243], v[156:159]// 00000000B094: D3F3009C 0E73E532
	v_mfma_f32_16x16x32_fp8_fp8 v[156:159], a[52:53], v[244:245], v[156:159]// 00000000B09C: D3F3009C 0E73E934
	v_mfma_f32_16x16x32_fp8_fp8 v[156:159], a[54:55], v[246:247], v[156:159]// 00000000B0A4: D3F3009C 0E73ED36
	v_mfma_f32_16x16x32_fp8_fp8 v[156:159], a[56:57], v[248:249], v[156:159]// 00000000B0AC: D3F3009C 0E73F138
	buffer_load_dwordx4 a[188:191], v39, s[92:95], 0 offen offset:3072// 00000000B0B4: E05C1C00 8097BC27
	v_mfma_f32_16x16x32_fp8_fp8 v[156:159], a[58:59], v[250:251], v[156:159]// 00000000B0BC: D3F3009C 0E73F53A
	v_mfma_f32_16x16x32_fp8_fp8 v[156:159], a[60:61], v[252:253], v[156:159]// 00000000B0C4: D3F3009C 0E73F93C
	v_mfma_f32_16x16x32_fp8_fp8 v[156:159], a[62:63], v[254:255], v[156:159]// 00000000B0CC: D3F3009C 0E73FD3E
	s_waitcnt vmcnt(45)                                        // 00000000B0D4: BF8C8F7D
	v_mfma_f32_16x16x32_fp8_fp8 v[160:163], a[64:65], v[224:225], v[160:163]// 00000000B0D8: D3F300A0 0E83C140
	buffer_load_dwordx4 a[192:195], v40, s[92:95], 0 offen     // 00000000B0E0: E05C1000 8097C028
	v_mfma_f32_16x16x32_fp8_fp8 v[160:163], a[66:67], v[226:227], v[160:163]// 00000000B0E8: D3F300A0 0E83C542
	v_mfma_f32_16x16x32_fp8_fp8 v[160:163], a[68:69], v[228:229], v[160:163]// 00000000B0F0: D3F300A0 0E83C944
	v_mfma_f32_16x16x32_fp8_fp8 v[160:163], a[70:71], v[230:231], v[160:163]// 00000000B0F8: D3F300A0 0E83CD46
	v_mfma_f32_16x16x32_fp8_fp8 v[160:163], a[72:73], v[232:233], v[160:163]// 00000000B100: D3F300A0 0E83D148
	buffer_load_dwordx4 a[196:199], v40, s[92:95], 0 offen offset:1024// 00000000B108: E05C1400 8097C428
	v_mfma_f32_16x16x32_fp8_fp8 v[160:163], a[74:75], v[234:235], v[160:163]// 00000000B110: D3F300A0 0E83D54A
	v_mfma_f32_16x16x32_fp8_fp8 v[160:163], a[76:77], v[236:237], v[160:163]// 00000000B118: D3F300A0 0E83D94C
	v_mfma_f32_16x16x32_fp8_fp8 v[160:163], a[78:79], v[238:239], v[160:163]// 00000000B120: D3F300A0 0E83DD4E
	v_mfma_f32_16x16x32_fp8_fp8 v[164:167], a[64:65], v[240:241], v[164:167]// 00000000B128: D3F300A4 0E93E140
	buffer_load_dwordx4 a[200:203], v40, s[92:95], 0 offen offset:2048// 00000000B130: E05C1800 8097C828
	v_mfma_f32_16x16x32_fp8_fp8 v[164:167], a[66:67], v[242:243], v[164:167]// 00000000B138: D3F300A4 0E93E542
	v_mfma_f32_16x16x32_fp8_fp8 v[164:167], a[68:69], v[244:245], v[164:167]// 00000000B140: D3F300A4 0E93E944
	v_mfma_f32_16x16x32_fp8_fp8 v[164:167], a[70:71], v[246:247], v[164:167]// 00000000B148: D3F300A4 0E93ED46
	v_mfma_f32_16x16x32_fp8_fp8 v[164:167], a[72:73], v[248:249], v[164:167]// 00000000B150: D3F300A4 0E93F148
	buffer_load_dwordx4 a[204:207], v40, s[92:95], 0 offen offset:3072// 00000000B158: E05C1C00 8097CC28
	v_mfma_f32_16x16x32_fp8_fp8 v[164:167], a[74:75], v[250:251], v[164:167]// 00000000B160: D3F300A4 0E93F54A
	v_mfma_f32_16x16x32_fp8_fp8 v[164:167], a[76:77], v[252:253], v[164:167]// 00000000B168: D3F300A4 0E93F94C
	v_mfma_f32_16x16x32_fp8_fp8 v[164:167], a[78:79], v[254:255], v[164:167]// 00000000B170: D3F300A4 0E93FD4E
	s_waitcnt vmcnt(45)                                        // 00000000B178: BF8C8F7D
	v_mfma_f32_16x16x32_fp8_fp8 v[168:171], a[80:81], v[224:225], v[168:171]// 00000000B17C: D3F300A8 0EA3C150
	buffer_load_dwordx4 a[208:211], v41, s[92:95], 0 offen     // 00000000B184: E05C1000 8097D029
	v_mfma_f32_16x16x32_fp8_fp8 v[168:171], a[82:83], v[226:227], v[168:171]// 00000000B18C: D3F300A8 0EA3C552
	v_mfma_f32_16x16x32_fp8_fp8 v[168:171], a[84:85], v[228:229], v[168:171]// 00000000B194: D3F300A8 0EA3C954
	v_mfma_f32_16x16x32_fp8_fp8 v[168:171], a[86:87], v[230:231], v[168:171]// 00000000B19C: D3F300A8 0EA3CD56
	v_mfma_f32_16x16x32_fp8_fp8 v[168:171], a[88:89], v[232:233], v[168:171]// 00000000B1A4: D3F300A8 0EA3D158
	buffer_load_dwordx4 a[212:215], v41, s[92:95], 0 offen offset:1024// 00000000B1AC: E05C1400 8097D429
	v_mfma_f32_16x16x32_fp8_fp8 v[168:171], a[90:91], v[234:235], v[168:171]// 00000000B1B4: D3F300A8 0EA3D55A
	v_mfma_f32_16x16x32_fp8_fp8 v[168:171], a[92:93], v[236:237], v[168:171]// 00000000B1BC: D3F300A8 0EA3D95C
	v_mfma_f32_16x16x32_fp8_fp8 v[168:171], a[94:95], v[238:239], v[168:171]// 00000000B1C4: D3F300A8 0EA3DD5E
	v_mfma_f32_16x16x32_fp8_fp8 v[172:175], a[80:81], v[240:241], v[172:175]// 00000000B1CC: D3F300AC 0EB3E150
	buffer_load_dwordx4 a[216:219], v41, s[92:95], 0 offen offset:2048// 00000000B1D4: E05C1800 8097D829
	v_mfma_f32_16x16x32_fp8_fp8 v[172:175], a[82:83], v[242:243], v[172:175]// 00000000B1DC: D3F300AC 0EB3E552
	v_mfma_f32_16x16x32_fp8_fp8 v[172:175], a[84:85], v[244:245], v[172:175]// 00000000B1E4: D3F300AC 0EB3E954
	v_mfma_f32_16x16x32_fp8_fp8 v[172:175], a[86:87], v[246:247], v[172:175]// 00000000B1EC: D3F300AC 0EB3ED56
	v_mfma_f32_16x16x32_fp8_fp8 v[172:175], a[88:89], v[248:249], v[172:175]// 00000000B1F4: D3F300AC 0EB3F158
	buffer_load_dwordx4 a[220:223], v41, s[92:95], 0 offen offset:3072// 00000000B1FC: E05C1C00 8097DC29
	v_mfma_f32_16x16x32_fp8_fp8 v[172:175], a[90:91], v[250:251], v[172:175]// 00000000B204: D3F300AC 0EB3F55A
	v_mfma_f32_16x16x32_fp8_fp8 v[172:175], a[92:93], v[252:253], v[172:175]// 00000000B20C: D3F300AC 0EB3F95C
	v_mfma_f32_16x16x32_fp8_fp8 v[172:175], a[94:95], v[254:255], v[172:175]// 00000000B214: D3F300AC 0EB3FD5E
	s_waitcnt vmcnt(45)                                        // 00000000B21C: BF8C8F7D
	v_mfma_f32_16x16x32_fp8_fp8 v[176:179], a[96:97], v[224:225], v[176:179]// 00000000B220: D3F300B0 0EC3C160
	buffer_load_dwordx4 a[224:227], v42, s[92:95], 0 offen     // 00000000B228: E05C1000 8097E02A
	v_mfma_f32_16x16x32_fp8_fp8 v[176:179], a[98:99], v[226:227], v[176:179]// 00000000B230: D3F300B0 0EC3C562
	v_mfma_f32_16x16x32_fp8_fp8 v[176:179], a[100:101], v[228:229], v[176:179]// 00000000B238: D3F300B0 0EC3C964
	v_mfma_f32_16x16x32_fp8_fp8 v[176:179], a[102:103], v[230:231], v[176:179]// 00000000B240: D3F300B0 0EC3CD66
	v_mfma_f32_16x16x32_fp8_fp8 v[176:179], a[104:105], v[232:233], v[176:179]// 00000000B248: D3F300B0 0EC3D168
	buffer_load_dwordx4 a[228:231], v42, s[92:95], 0 offen offset:1024// 00000000B250: E05C1400 8097E42A
	v_mfma_f32_16x16x32_fp8_fp8 v[176:179], a[106:107], v[234:235], v[176:179]// 00000000B258: D3F300B0 0EC3D56A
	v_mfma_f32_16x16x32_fp8_fp8 v[176:179], a[108:109], v[236:237], v[176:179]// 00000000B260: D3F300B0 0EC3D96C
	v_mfma_f32_16x16x32_fp8_fp8 v[176:179], a[110:111], v[238:239], v[176:179]// 00000000B268: D3F300B0 0EC3DD6E
	v_mfma_f32_16x16x32_fp8_fp8 v[180:183], a[96:97], v[240:241], v[180:183]// 00000000B270: D3F300B4 0ED3E160
	buffer_load_dwordx4 a[232:235], v42, s[92:95], 0 offen offset:2048// 00000000B278: E05C1800 8097E82A
	v_mfma_f32_16x16x32_fp8_fp8 v[180:183], a[98:99], v[242:243], v[180:183]// 00000000B280: D3F300B4 0ED3E562
	v_mfma_f32_16x16x32_fp8_fp8 v[180:183], a[100:101], v[244:245], v[180:183]// 00000000B288: D3F300B4 0ED3E964
	v_mfma_f32_16x16x32_fp8_fp8 v[180:183], a[102:103], v[246:247], v[180:183]// 00000000B290: D3F300B4 0ED3ED66
	v_mfma_f32_16x16x32_fp8_fp8 v[180:183], a[104:105], v[248:249], v[180:183]// 00000000B298: D3F300B4 0ED3F168
	buffer_load_dwordx4 a[236:239], v42, s[92:95], 0 offen offset:3072// 00000000B2A0: E05C1C00 8097EC2A
	v_mfma_f32_16x16x32_fp8_fp8 v[180:183], a[106:107], v[250:251], v[180:183]// 00000000B2A8: D3F300B4 0ED3F56A
	v_mfma_f32_16x16x32_fp8_fp8 v[180:183], a[108:109], v[252:253], v[180:183]// 00000000B2B0: D3F300B4 0ED3F96C
	v_mfma_f32_16x16x32_fp8_fp8 v[180:183], a[110:111], v[254:255], v[180:183]// 00000000B2B8: D3F300B4 0ED3FD6E
	s_waitcnt vmcnt(45)                                        // 00000000B2C0: BF8C8F7D
	v_mfma_f32_16x16x32_fp8_fp8 v[184:187], a[112:113], v[224:225], v[184:187]// 00000000B2C4: D3F300B8 0EE3C170
	buffer_load_dwordx4 a[240:243], v43, s[92:95], 0 offen     // 00000000B2CC: E05C1000 8097F02B
	v_mfma_f32_16x16x32_fp8_fp8 v[184:187], a[114:115], v[226:227], v[184:187]// 00000000B2D4: D3F300B8 0EE3C572
	v_mfma_f32_16x16x32_fp8_fp8 v[184:187], a[116:117], v[228:229], v[184:187]// 00000000B2DC: D3F300B8 0EE3C974
	v_mfma_f32_16x16x32_fp8_fp8 v[184:187], a[118:119], v[230:231], v[184:187]// 00000000B2E4: D3F300B8 0EE3CD76
	v_mfma_f32_16x16x32_fp8_fp8 v[184:187], a[120:121], v[232:233], v[184:187]// 00000000B2EC: D3F300B8 0EE3D178
	buffer_load_dwordx4 a[244:247], v43, s[92:95], 0 offen offset:1024// 00000000B2F4: E05C1400 8097F42B
	v_mfma_f32_16x16x32_fp8_fp8 v[184:187], a[122:123], v[234:235], v[184:187]// 00000000B2FC: D3F300B8 0EE3D57A
	v_mfma_f32_16x16x32_fp8_fp8 v[184:187], a[124:125], v[236:237], v[184:187]// 00000000B304: D3F300B8 0EE3D97C
	v_mfma_f32_16x16x32_fp8_fp8 v[184:187], a[126:127], v[238:239], v[184:187]// 00000000B30C: D3F300B8 0EE3DD7E
	v_mfma_f32_16x16x32_fp8_fp8 v[188:191], a[112:113], v[240:241], v[188:191]// 00000000B314: D3F300BC 0EF3E170
	buffer_load_dwordx4 a[248:251], v43, s[92:95], 0 offen offset:2048// 00000000B31C: E05C1800 8097F82B
	v_mfma_f32_16x16x32_fp8_fp8 v[188:191], a[114:115], v[242:243], v[188:191]// 00000000B324: D3F300BC 0EF3E572
	v_mfma_f32_16x16x32_fp8_fp8 v[188:191], a[116:117], v[244:245], v[188:191]// 00000000B32C: D3F300BC 0EF3E974
	v_mfma_f32_16x16x32_fp8_fp8 v[188:191], a[118:119], v[246:247], v[188:191]// 00000000B334: D3F300BC 0EF3ED76
	v_mfma_f32_16x16x32_fp8_fp8 v[188:191], a[120:121], v[248:249], v[188:191]// 00000000B33C: D3F300BC 0EF3F178
	buffer_load_dwordx4 a[252:255], v43, s[92:95], 0 offen offset:3072// 00000000B344: E05C1C00 8097FC2B
	v_mfma_f32_16x16x32_fp8_fp8 v[188:191], a[122:123], v[250:251], v[188:191]// 00000000B34C: D3F300BC 0EF3F57A
	v_mfma_f32_16x16x32_fp8_fp8 v[188:191], a[124:125], v[252:253], v[188:191]// 00000000B354: D3F300BC 0EF3F97C
	v_mfma_f32_16x16x32_fp8_fp8 v[188:191], a[126:127], v[254:255], v[188:191]// 00000000B35C: D3F300BC 0EF3FD7E
	v_mov_b32_e32 v44, v26                                     // 00000000B364: 7E58031A
	v_mov_b32_e32 v46, v27                                     // 00000000B368: 7E5C031B
	v_mov_b32_e32 v45, v44                                     // 00000000B36C: 7E5A032C
	v_mov_b32_e32 v47, v46                                     // 00000000B370: 7E5E032E
	v_pk_mul_f32 v[128:129], v[44:45], v[128:129]              // 00000000B374: D3B14080 1803012C
	v_pk_mul_f32 v[130:131], v[44:45], v[130:131]              // 00000000B37C: D3B14082 1803052C
	v_pk_mul_f32 v[132:133], v[46:47], v[132:133]              // 00000000B384: D3B14084 1803092E
	v_pk_mul_f32 v[134:135], v[46:47], v[134:135]              // 00000000B38C: D3B14086 18030D2E
	v_pk_mul_f32 v[136:137], v[44:45], v[136:137]              // 00000000B394: D3B14088 1803112C
	v_pk_mul_f32 v[138:139], v[44:45], v[138:139]              // 00000000B39C: D3B1408A 1803152C
	v_pk_mul_f32 v[140:141], v[46:47], v[140:141]              // 00000000B3A4: D3B1408C 1803192E
	v_pk_mul_f32 v[142:143], v[46:47], v[142:143]              // 00000000B3AC: D3B1408E 18031D2E
	v_pk_mul_f32 v[144:145], v[44:45], v[144:145]              // 00000000B3B4: D3B14090 1803212C
	v_pk_mul_f32 v[146:147], v[44:45], v[146:147]              // 00000000B3BC: D3B14092 1803252C
	v_pk_mul_f32 v[148:149], v[46:47], v[148:149]              // 00000000B3C4: D3B14094 1803292E
	v_pk_mul_f32 v[150:151], v[46:47], v[150:151]              // 00000000B3CC: D3B14096 18032D2E
	v_pk_mul_f32 v[152:153], v[44:45], v[152:153]              // 00000000B3D4: D3B14098 1803312C
	v_pk_mul_f32 v[154:155], v[44:45], v[154:155]              // 00000000B3DC: D3B1409A 1803352C
	v_pk_mul_f32 v[156:157], v[46:47], v[156:157]              // 00000000B3E4: D3B1409C 1803392E
	v_pk_mul_f32 v[158:159], v[46:47], v[158:159]              // 00000000B3EC: D3B1409E 18033D2E
	v_pk_mul_f32 v[160:161], v[44:45], v[160:161]              // 00000000B3F4: D3B140A0 1803412C
	v_pk_mul_f32 v[162:163], v[44:45], v[162:163]              // 00000000B3FC: D3B140A2 1803452C
	v_pk_mul_f32 v[164:165], v[46:47], v[164:165]              // 00000000B404: D3B140A4 1803492E
	v_pk_mul_f32 v[166:167], v[46:47], v[166:167]              // 00000000B40C: D3B140A6 18034D2E
	v_pk_mul_f32 v[168:169], v[44:45], v[168:169]              // 00000000B414: D3B140A8 1803512C
	v_pk_mul_f32 v[170:171], v[44:45], v[170:171]              // 00000000B41C: D3B140AA 1803552C
	v_pk_mul_f32 v[172:173], v[46:47], v[172:173]              // 00000000B424: D3B140AC 1803592E
	v_pk_mul_f32 v[174:175], v[46:47], v[174:175]              // 00000000B42C: D3B140AE 18035D2E
	v_pk_mul_f32 v[176:177], v[44:45], v[176:177]              // 00000000B434: D3B140B0 1803612C
	v_pk_mul_f32 v[178:179], v[44:45], v[178:179]              // 00000000B43C: D3B140B2 1803652C
	v_pk_mul_f32 v[180:181], v[46:47], v[180:181]              // 00000000B444: D3B140B4 1803692E
	v_pk_mul_f32 v[182:183], v[46:47], v[182:183]              // 00000000B44C: D3B140B6 18036D2E
	v_pk_mul_f32 v[184:185], v[44:45], v[184:185]              // 00000000B454: D3B140B8 1803712C
	v_pk_mul_f32 v[186:187], v[44:45], v[186:187]              // 00000000B45C: D3B140BA 1803752C
	v_pk_mul_f32 v[188:189], v[46:47], v[188:189]              // 00000000B464: D3B140BC 1803792E
	v_pk_mul_f32 v[190:191], v[46:47], v[190:191]              // 00000000B46C: D3B140BE 18037D2E
	v_rcp_f32_e32 v44, v26                                     // 00000000B474: 7E58451A
	v_rcp_f32_e32 v46, v27                                     // 00000000B478: 7E5C451B
	v_mov_b32_e32 v45, v44                                     // 00000000B47C: 7E5A032C
	v_mov_b32_e32 v47, v46                                     // 00000000B480: 7E5E032E
	v_pk_mul_f32 v[64:65], v[44:45], v[64:65]                  // 00000000B484: D3B14040 1802812C
	v_pk_mul_f32 v[66:67], v[44:45], v[66:67]                  // 00000000B48C: D3B14042 1802852C
	v_pk_mul_f32 v[68:69], v[46:47], v[68:69]                  // 00000000B494: D3B14044 1802892E
	v_pk_mul_f32 v[70:71], v[46:47], v[70:71]                  // 00000000B49C: D3B14046 18028D2E
	v_pk_mul_f32 v[72:73], v[44:45], v[72:73]                  // 00000000B4A4: D3B14048 1802912C
	v_pk_mul_f32 v[74:75], v[44:45], v[74:75]                  // 00000000B4AC: D3B1404A 1802952C
	v_pk_mul_f32 v[76:77], v[46:47], v[76:77]                  // 00000000B4B4: D3B1404C 1802992E
	v_pk_mul_f32 v[78:79], v[46:47], v[78:79]                  // 00000000B4BC: D3B1404E 18029D2E
	v_pk_mul_f32 v[80:81], v[44:45], v[80:81]                  // 00000000B4C4: D3B14050 1802A12C
	v_pk_mul_f32 v[82:83], v[44:45], v[82:83]                  // 00000000B4CC: D3B14052 1802A52C
	v_pk_mul_f32 v[84:85], v[46:47], v[84:85]                  // 00000000B4D4: D3B14054 1802A92E
	v_pk_mul_f32 v[86:87], v[46:47], v[86:87]                  // 00000000B4DC: D3B14056 1802AD2E
	v_pk_mul_f32 v[88:89], v[44:45], v[88:89]                  // 00000000B4E4: D3B14058 1802B12C
	v_pk_mul_f32 v[90:91], v[44:45], v[90:91]                  // 00000000B4EC: D3B1405A 1802B52C
	v_pk_mul_f32 v[92:93], v[46:47], v[92:93]                  // 00000000B4F4: D3B1405C 1802B92E
	v_pk_mul_f32 v[94:95], v[46:47], v[94:95]                  // 00000000B4FC: D3B1405E 1802BD2E
	v_pk_mul_f32 v[96:97], v[44:45], v[96:97]                  // 00000000B504: D3B14060 1802C12C
	v_pk_mul_f32 v[98:99], v[44:45], v[98:99]                  // 00000000B50C: D3B14062 1802C52C
	v_pk_mul_f32 v[100:101], v[46:47], v[100:101]              // 00000000B514: D3B14064 1802C92E
	v_pk_mul_f32 v[102:103], v[46:47], v[102:103]              // 00000000B51C: D3B14066 1802CD2E
	v_pk_mul_f32 v[104:105], v[44:45], v[104:105]              // 00000000B524: D3B14068 1802D12C
	v_pk_mul_f32 v[106:107], v[44:45], v[106:107]              // 00000000B52C: D3B1406A 1802D52C
	v_pk_mul_f32 v[108:109], v[46:47], v[108:109]              // 00000000B534: D3B1406C 1802D92E
	v_pk_mul_f32 v[110:111], v[46:47], v[110:111]              // 00000000B53C: D3B1406E 1802DD2E
	v_pk_mul_f32 v[112:113], v[44:45], v[112:113]              // 00000000B544: D3B14070 1802E12C
	v_pk_mul_f32 v[114:115], v[44:45], v[114:115]              // 00000000B54C: D3B14072 1802E52C
	v_pk_mul_f32 v[116:117], v[46:47], v[116:117]              // 00000000B554: D3B14074 1802E92E
	v_pk_mul_f32 v[118:119], v[46:47], v[118:119]              // 00000000B55C: D3B14076 1802ED2E
	v_pk_mul_f32 v[120:121], v[44:45], v[120:121]              // 00000000B564: D3B14078 1802F12C
	v_pk_mul_f32 v[122:123], v[44:45], v[122:123]              // 00000000B56C: D3B1407A 1802F52C
	v_pk_mul_f32 v[124:125], v[46:47], v[124:125]              // 00000000B574: D3B1407C 1802F92E
	v_pk_mul_f32 v[126:127], v[46:47], v[126:127]              // 00000000B57C: D3B1407E 1802FD2E
	s_waitcnt vmcnt(24)                                        // 00000000B584: BF8C4F78
	s_barrier                                                  // 00000000B588: BF8A0000
	v_mfma_f32_16x16x32_fp8_fp8 v[64:67], a[128:129], v[224:225], v[64:67]// 00000000B58C: D3F30040 0D03C180
	buffer_load_dwordx4 a[0:3], v36, s[24:27], 0 offen         // 00000000B594: E05C1000 80860024
	v_mfma_f32_16x16x32_fp8_fp8 v[64:67], a[130:131], v[226:227], v[64:67]// 00000000B59C: D3F30040 0D03C582
	ds_read_b64 v[192:193], v2 offset:2048                     // 00000000B5A4: D8EC0800 C0000002
	ds_read_b64 v[196:197], v2 offset:10368                    // 00000000B5AC: D8EC2880 C4000002
	v_mfma_f32_16x16x32_fp8_fp8 v[64:67], a[132:133], v[228:229], v[64:67]// 00000000B5B4: D3F30040 0D03C984
	v_mfma_f32_16x16x32_fp8_fp8 v[64:67], a[134:135], v[230:231], v[64:67]// 00000000B5BC: D3F30040 0D03CD86
	ds_read_b64 v[200:201], v2 offset:2176                     // 00000000B5C4: D8EC0880 C8000002
	ds_read_b64 v[204:205], v2 offset:10496                    // 00000000B5CC: D8EC2900 CC000002
	v_mfma_f32_16x16x32_fp8_fp8 v[64:67], a[136:137], v[232:233], v[64:67]// 00000000B5D4: D3F30040 0D03D188
	buffer_load_dwordx4 a[4:7], v36, s[24:27], 0 offen offset:1024// 00000000B5DC: E05C1400 80860424
	v_mfma_f32_16x16x32_fp8_fp8 v[64:67], a[138:139], v[234:235], v[64:67]// 00000000B5E4: D3F30040 0D03D58A
	ds_read_b64 v[208:209], v2 offset:2304                     // 00000000B5EC: D8EC0900 D0000002
	ds_read_b64 v[212:213], v2 offset:10624                    // 00000000B5F4: D8EC2980 D4000002
	v_mfma_f32_16x16x32_fp8_fp8 v[64:67], a[140:141], v[236:237], v[64:67]// 00000000B5FC: D3F30040 0D03D98C
	v_mfma_f32_16x16x32_fp8_fp8 v[64:67], a[142:143], v[238:239], v[64:67]// 00000000B604: D3F30040 0D03DD8E
	ds_read_b64 v[216:217], v2 offset:2432                     // 00000000B60C: D8EC0980 D8000002
	ds_read_b64 v[220:221], v2 offset:10752                    // 00000000B614: D8EC2A00 DC000002
	s_waitcnt lgkmcnt(4)                                       // 00000000B61C: BF8CC47F
	v_and_b32_e32 v195, 0xffff0000, v193                       // 00000000B620: 278782FF FFFF0000
	v_lshlrev_b32_e32 v194, 16, v193                           // 00000000B628: 25858290
	v_and_b32_e32 v193, 0xffff0000, v192                       // 00000000B62C: 278380FF FFFF0000
	v_lshlrev_b32_e32 v192, 16, v192                           // 00000000B634: 25818090
	v_and_b32_e32 v199, 0xffff0000, v197                       // 00000000B638: 278F8AFF FFFF0000
	v_lshlrev_b32_e32 v198, 16, v197                           // 00000000B640: 258D8A90
	v_and_b32_e32 v197, 0xffff0000, v196                       // 00000000B644: 278B88FF FFFF0000
	v_lshlrev_b32_e32 v196, 16, v196                           // 00000000B64C: 25898890
	v_and_b32_e32 v203, 0xffff0000, v201                       // 00000000B650: 279792FF FFFF0000
	v_lshlrev_b32_e32 v202, 16, v201                           // 00000000B658: 25959290
	v_and_b32_e32 v201, 0xffff0000, v200                       // 00000000B65C: 279390FF FFFF0000
	v_lshlrev_b32_e32 v200, 16, v200                           // 00000000B664: 25919090
	v_and_b32_e32 v207, 0xffff0000, v205                       // 00000000B668: 279F9AFF FFFF0000
	v_lshlrev_b32_e32 v206, 16, v205                           // 00000000B670: 259D9A90
	v_and_b32_e32 v205, 0xffff0000, v204                       // 00000000B674: 279B98FF FFFF0000
	v_lshlrev_b32_e32 v204, 16, v204                           // 00000000B67C: 25999890
	v_mul_f32_dpp v192, v14, v192 row_newbcast:0 row_mask:0xf bank_mask:0xf// 00000000B680: 0B8180FA FF01500E
	v_mul_f32_dpp v193, v14, v193 row_newbcast:1 row_mask:0xf bank_mask:0xf// 00000000B688: 0B8382FA FF01510E
	v_mul_f32_dpp v194, v14, v194 row_newbcast:2 row_mask:0xf bank_mask:0xf// 00000000B690: 0B8584FA FF01520E
	v_mul_f32_dpp v195, v14, v195 row_newbcast:3 row_mask:0xf bank_mask:0xf// 00000000B698: 0B8786FA FF01530E
	v_mul_f32_dpp v196, v14, v196 row_newbcast:0 row_mask:0xf bank_mask:0xf// 00000000B6A0: 0B8988FA FF01500E
	v_mul_f32_dpp v197, v14, v197 row_newbcast:1 row_mask:0xf bank_mask:0xf// 00000000B6A8: 0B8B8AFA FF01510E
	v_mul_f32_dpp v198, v14, v198 row_newbcast:2 row_mask:0xf bank_mask:0xf// 00000000B6B0: 0B8D8CFA FF01520E
	v_mul_f32_dpp v199, v14, v199 row_newbcast:3 row_mask:0xf bank_mask:0xf// 00000000B6B8: 0B8F8EFA FF01530E
	v_mul_f32_dpp v200, v14, v200 row_newbcast:4 row_mask:0xf bank_mask:0xf// 00000000B6C0: 0B9190FA FF01540E
	v_mul_f32_dpp v201, v14, v201 row_newbcast:5 row_mask:0xf bank_mask:0xf// 00000000B6C8: 0B9392FA FF01550E
	v_mul_f32_dpp v202, v14, v202 row_newbcast:6 row_mask:0xf bank_mask:0xf// 00000000B6D0: 0B9594FA FF01560E
	v_mul_f32_dpp v203, v14, v203 row_newbcast:7 row_mask:0xf bank_mask:0xf// 00000000B6D8: 0B9796FA FF01570E
	v_mul_f32_dpp v204, v14, v204 row_newbcast:4 row_mask:0xf bank_mask:0xf// 00000000B6E0: 0B9998FA FF01540E
	v_mul_f32_dpp v205, v14, v205 row_newbcast:5 row_mask:0xf bank_mask:0xf// 00000000B6E8: 0B9B9AFA FF01550E
	v_mul_f32_dpp v206, v14, v206 row_newbcast:6 row_mask:0xf bank_mask:0xf// 00000000B6F0: 0B9D9CFA FF01560E
	v_mul_f32_dpp v207, v14, v207 row_newbcast:7 row_mask:0xf bank_mask:0xf// 00000000B6F8: 0B9F9EFA FF01570E
	v_mfma_f32_16x16x32_fp8_fp8 v[68:71], a[128:129], v[240:241], v[68:71]// 00000000B700: D3F30044 0D13E180
	buffer_load_dwordx4 a[8:11], v36, s[24:27], 0 offen offset:2048// 00000000B708: E05C1800 80860824
	v_mfma_f32_16x16x32_fp8_fp8 v[68:71], a[130:131], v[242:243], v[68:71]// 00000000B710: D3F30044 0D13E582
	v_mfma_f32_16x16x32_fp8_fp8 v[68:71], a[132:133], v[244:245], v[68:71]// 00000000B718: D3F30044 0D13E984
	v_mfma_f32_16x16x32_fp8_fp8 v[68:71], a[134:135], v[246:247], v[68:71]// 00000000B720: D3F30044 0D13ED86
	v_mfma_f32_16x16x32_fp8_fp8 v[68:71], a[136:137], v[248:249], v[68:71]// 00000000B728: D3F30044 0D13F188
	buffer_load_dwordx4 a[12:15], v36, s[24:27], 0 offen offset:3072// 00000000B730: E05C1C00 80860C24
	v_mfma_f32_16x16x32_fp8_fp8 v[68:71], a[138:139], v[250:251], v[68:71]// 00000000B738: D3F30044 0D13F58A
	v_mfma_f32_16x16x32_fp8_fp8 v[68:71], a[140:141], v[252:253], v[68:71]// 00000000B740: D3F30044 0D13F98C
	v_mfma_f32_16x16x32_fp8_fp8 v[68:71], a[142:143], v[254:255], v[68:71]// 00000000B748: D3F30044 0D13FD8E
	s_waitcnt lgkmcnt(0)                                       // 00000000B750: BF8CC07F
	v_and_b32_e32 v211, 0xffff0000, v209                       // 00000000B754: 27A7A2FF FFFF0000
	v_lshlrev_b32_e32 v210, 16, v209                           // 00000000B75C: 25A5A290
	v_and_b32_e32 v209, 0xffff0000, v208                       // 00000000B760: 27A3A0FF FFFF0000
	v_lshlrev_b32_e32 v208, 16, v208                           // 00000000B768: 25A1A090
	v_and_b32_e32 v215, 0xffff0000, v213                       // 00000000B76C: 27AFAAFF FFFF0000
	v_lshlrev_b32_e32 v214, 16, v213                           // 00000000B774: 25ADAA90
	v_and_b32_e32 v213, 0xffff0000, v212                       // 00000000B778: 27ABA8FF FFFF0000
	v_lshlrev_b32_e32 v212, 16, v212                           // 00000000B780: 25A9A890
	v_and_b32_e32 v219, 0xffff0000, v217                       // 00000000B784: 27B7B2FF FFFF0000
	v_lshlrev_b32_e32 v218, 16, v217                           // 00000000B78C: 25B5B290
	v_and_b32_e32 v217, 0xffff0000, v216                       // 00000000B790: 27B3B0FF FFFF0000
	v_lshlrev_b32_e32 v216, 16, v216                           // 00000000B798: 25B1B090
	v_and_b32_e32 v223, 0xffff0000, v221                       // 00000000B79C: 27BFBAFF FFFF0000
	v_lshlrev_b32_e32 v222, 16, v221                           // 00000000B7A4: 25BDBA90
	v_and_b32_e32 v221, 0xffff0000, v220                       // 00000000B7A8: 27BBB8FF FFFF0000
	v_lshlrev_b32_e32 v220, 16, v220                           // 00000000B7B0: 25B9B890
	v_mul_f32_dpp v208, v14, v208 row_newbcast:8 row_mask:0xf bank_mask:0xf// 00000000B7B4: 0BA1A0FA FF01580E
	v_mul_f32_dpp v209, v14, v209 row_newbcast:9 row_mask:0xf bank_mask:0xf// 00000000B7BC: 0BA3A2FA FF01590E
	v_mul_f32_dpp v210, v14, v210 row_newbcast:10 row_mask:0xf bank_mask:0xf// 00000000B7C4: 0BA5A4FA FF015A0E
	v_mul_f32_dpp v211, v14, v211 row_newbcast:11 row_mask:0xf bank_mask:0xf// 00000000B7CC: 0BA7A6FA FF015B0E
	v_mul_f32_dpp v212, v14, v212 row_newbcast:8 row_mask:0xf bank_mask:0xf// 00000000B7D4: 0BA9A8FA FF01580E
	v_mul_f32_dpp v213, v14, v213 row_newbcast:9 row_mask:0xf bank_mask:0xf// 00000000B7DC: 0BABAAFA FF01590E
	v_mul_f32_dpp v214, v14, v214 row_newbcast:10 row_mask:0xf bank_mask:0xf// 00000000B7E4: 0BADACFA FF015A0E
	v_mul_f32_dpp v215, v14, v215 row_newbcast:11 row_mask:0xf bank_mask:0xf// 00000000B7EC: 0BAFAEFA FF015B0E
	v_mul_f32_dpp v216, v14, v216 row_newbcast:12 row_mask:0xf bank_mask:0xf// 00000000B7F4: 0BB1B0FA FF015C0E
	v_mul_f32_dpp v217, v14, v217 row_newbcast:13 row_mask:0xf bank_mask:0xf// 00000000B7FC: 0BB3B2FA FF015D0E
	v_mul_f32_dpp v218, v14, v218 row_newbcast:14 row_mask:0xf bank_mask:0xf// 00000000B804: 0BB5B4FA FF015E0E
	v_mul_f32_dpp v219, v14, v219 row_newbcast:15 row_mask:0xf bank_mask:0xf// 00000000B80C: 0BB7B6FA FF015F0E
	v_mul_f32_dpp v220, v14, v220 row_newbcast:12 row_mask:0xf bank_mask:0xf// 00000000B814: 0BB9B8FA FF015C0E
	v_mul_f32_dpp v221, v14, v221 row_newbcast:13 row_mask:0xf bank_mask:0xf// 00000000B81C: 0BBBBAFA FF015D0E
	v_mul_f32_dpp v222, v14, v222 row_newbcast:14 row_mask:0xf bank_mask:0xf// 00000000B824: 0BBDBCFA FF015E0E
	v_mul_f32_dpp v223, v14, v223 row_newbcast:15 row_mask:0xf bank_mask:0xf// 00000000B82C: 0BBFBEFA FF015F0E
	v_mfma_f32_16x16x32_fp8_fp8 v[72:75], a[144:145], v[224:225], v[72:75]// 00000000B834: D3F30048 0D23C190
	buffer_load_dwordx4 a[16:19], v37, s[24:27], 0 offen       // 00000000B83C: E05C1000 80861025
	v_mfma_f32_16x16x32_fp8_fp8 v[72:75], a[146:147], v[226:227], v[72:75]// 00000000B844: D3F30048 0D23C592
	v_mfma_f32_16x16x32_fp8_fp8 v[72:75], a[148:149], v[228:229], v[72:75]// 00000000B84C: D3F30048 0D23C994
	v_mfma_f32_16x16x32_fp8_fp8 v[72:75], a[150:151], v[230:231], v[72:75]// 00000000B854: D3F30048 0D23CD96
	v_mfma_f32_16x16x32_fp8_fp8 v[72:75], a[152:153], v[232:233], v[72:75]// 00000000B85C: D3F30048 0D23D198
	buffer_load_dwordx4 a[20:23], v37, s[24:27], 0 offen offset:1024// 00000000B864: E05C1400 80861425
	v_mfma_f32_16x16x32_fp8_fp8 v[72:75], a[154:155], v[234:235], v[72:75]// 00000000B86C: D3F30048 0D23D59A
	v_mfma_f32_16x16x32_fp8_fp8 v[72:75], a[156:157], v[236:237], v[72:75]// 00000000B874: D3F30048 0D23D99C
	v_mfma_f32_16x16x32_fp8_fp8 v[72:75], a[158:159], v[238:239], v[72:75]// 00000000B87C: D3F30048 0D23DD9E
	v_mov_b32_e32 v48, 0x358637bd                              // 00000000B884: 7E6002FF 358637BD
	v_mov_b32_e32 v49, 0x358637bd                              // 00000000B88C: 7E6202FF 358637BD
	v_max3_f32 v48, |v192|, |v193|, v48                        // 00000000B894: D1D30330 04C383C0
	v_max3_f32 v48, |v194|, |v195|, v48                        // 00000000B89C: D1D30330 04C387C2
	v_max3_f32 v49, |v196|, |v197|, v49                        // 00000000B8A4: D1D30331 04C78BC4
	v_max3_f32 v49, |v198|, |v199|, v49                        // 00000000B8AC: D1D30331 04C78FC6
	v_max3_f32 v48, |v200|, |v201|, v48                        // 00000000B8B4: D1D30330 04C393C8
	v_max3_f32 v48, |v202|, |v203|, v48                        // 00000000B8BC: D1D30330 04C397CA
	v_max3_f32 v49, |v204|, |v205|, v49                        // 00000000B8C4: D1D30331 04C79BCC
	v_max3_f32 v49, |v206|, |v207|, v49                        // 00000000B8CC: D1D30331 04C79FCE
	v_max3_f32 v48, |v208|, |v209|, v48                        // 00000000B8D4: D1D30330 04C3A3D0
	v_max3_f32 v48, |v210|, |v211|, v48                        // 00000000B8DC: D1D30330 04C3A7D2
	v_max3_f32 v49, |v212|, |v213|, v49                        // 00000000B8E4: D1D30331 04C7ABD4
	v_max3_f32 v49, |v214|, |v215|, v49                        // 00000000B8EC: D1D30331 04C7AFD6
	v_max3_f32 v48, |v216|, |v217|, v48                        // 00000000B8F4: D1D30330 04C3B3D8
	v_max3_f32 v48, |v218|, |v219|, v48                        // 00000000B8FC: D1D30330 04C3B7DA
	v_max3_f32 v49, |v220|, |v221|, v49                        // 00000000B904: D1D30331 04C7BBDC
	v_max3_f32 v49, |v222|, |v223|, v49                        // 00000000B90C: D1D30331 04C7BFDE
	v_mfma_f32_16x16x32_fp8_fp8 v[76:79], a[144:145], v[240:241], v[76:79]// 00000000B914: D3F3004C 0D33E190
	buffer_load_dwordx4 a[24:27], v37, s[24:27], 0 offen offset:2048// 00000000B91C: E05C1800 80861825
	v_mfma_f32_16x16x32_fp8_fp8 v[76:79], a[146:147], v[242:243], v[76:79]// 00000000B924: D3F3004C 0D33E592
	ds_write_b64 v3, v[48:49]                                  // 00000000B92C: D89A0000 00003003
	v_mfma_f32_16x16x32_fp8_fp8 v[76:79], a[148:149], v[244:245], v[76:79]// 00000000B934: D3F3004C 0D33E994
	v_mfma_f32_16x16x32_fp8_fp8 v[76:79], a[150:151], v[246:247], v[76:79]// 00000000B93C: D3F3004C 0D33ED96
	v_mfma_f32_16x16x32_fp8_fp8 v[76:79], a[152:153], v[248:249], v[76:79]// 00000000B944: D3F3004C 0D33F198
	buffer_load_dwordx4 a[28:31], v37, s[24:27], 0 offen offset:3072// 00000000B94C: E05C1C00 80861C25
	v_mfma_f32_16x16x32_fp8_fp8 v[76:79], a[154:155], v[250:251], v[76:79]// 00000000B954: D3F3004C 0D33F59A
	v_mfma_f32_16x16x32_fp8_fp8 v[76:79], a[156:157], v[252:253], v[76:79]// 00000000B95C: D3F3004C 0D33F99C
	v_mfma_f32_16x16x32_fp8_fp8 v[76:79], a[158:159], v[254:255], v[76:79]// 00000000B964: D3F3004C 0D33FD9E
	s_waitcnt lgkmcnt(0)                                       // 00000000B96C: BF8CC07F
	s_barrier                                                  // 00000000B970: BF8A0000
	s_waitcnt vmcnt(28)                                        // 00000000B974: BF8C4F7C
	v_mfma_f32_16x16x32_fp8_fp8 v[80:83], a[160:161], v[224:225], v[80:83]// 00000000B978: D3F30050 0D43C1A0
	buffer_load_dwordx4 a[32:35], v38, s[24:27], 0 offen       // 00000000B980: E05C1000 80862026
	v_mfma_f32_16x16x32_fp8_fp8 v[80:83], a[162:163], v[226:227], v[80:83]// 00000000B988: D3F30050 0D43C5A2
	ds_read_b64 v[48:49], v4                                   // 00000000B990: D8EC0000 30000004
	ds_read_b64 v[50:51], v4 offset:128                        // 00000000B998: D8EC0080 32000004
	v_mfma_f32_16x16x32_fp8_fp8 v[80:83], a[164:165], v[228:229], v[80:83]// 00000000B9A0: D3F30050 0D43C9A4
	v_mfma_f32_16x16x32_fp8_fp8 v[80:83], a[166:167], v[230:231], v[80:83]// 00000000B9A8: D3F30050 0D43CDA6
	ds_read_b64 v[52:53], v4 offset:256                        // 00000000B9B0: D8EC0100 34000004
	ds_read_b64 v[54:55], v4 offset:384                        // 00000000B9B8: D8EC0180 36000004
	v_mfma_f32_16x16x32_fp8_fp8 v[80:83], a[168:169], v[232:233], v[80:83]// 00000000B9C0: D3F30050 0D43D1A8
	buffer_load_dwordx4 a[36:39], v38, s[24:27], 0 offen offset:1024// 00000000B9C8: E05C1400 80862426
	v_mfma_f32_16x16x32_fp8_fp8 v[80:83], a[170:171], v[234:235], v[80:83]// 00000000B9D0: D3F30050 0D43D5AA
	ds_read_b64 v[56:57], v4 offset:512                        // 00000000B9D8: D8EC0200 38000004
	ds_read_b64 v[58:59], v4 offset:640                        // 00000000B9E0: D8EC0280 3A000004
	v_mfma_f32_16x16x32_fp8_fp8 v[80:83], a[172:173], v[236:237], v[80:83]// 00000000B9E8: D3F30050 0D43D9AC
	v_mfma_f32_16x16x32_fp8_fp8 v[80:83], a[174:175], v[238:239], v[80:83]// 00000000B9F0: D3F30050 0D43DDAE
	ds_read_b64 v[60:61], v4 offset:768                        // 00000000B9F8: D8EC0300 3C000004
	ds_read_b64 v[62:63], v4 offset:896                        // 00000000BA00: D8EC0380 3E000004
	s_waitcnt lgkmcnt(0)                                       // 00000000BA08: BF8CC07F
	v_mov_b32_e32 v22, 0x358637bd                              // 00000000BA0C: 7E2C02FF 358637BD
	v_mov_b32_e32 v23, 0x358637bd                              // 00000000BA14: 7E2E02FF 358637BD
	v_max3_f32 v22, |v48|, |v50|, v22                          // 00000000BA1C: D1D30316 045A6530
	v_max3_f32 v23, |v49|, |v51|, v23                          // 00000000BA24: D1D30317 045E6731
	v_max3_f32 v22, |v52|, |v54|, v22                          // 00000000BA2C: D1D30316 045A6D34
	v_max3_f32 v23, |v53|, |v55|, v23                          // 00000000BA34: D1D30317 045E6F35
	v_max3_f32 v22, |v56|, |v58|, v22                          // 00000000BA3C: D1D30316 045A7538
	v_max3_f32 v23, |v57|, |v59|, v23                          // 00000000BA44: D1D30317 045E7739
	v_max3_f32 v22, |v60|, |v62|, v22                          // 00000000BA4C: D1D30316 045A7D3C
	v_max3_f32 v23, |v61|, |v63|, v23                          // 00000000BA54: D1D30317 045E7F3D
	v_mfma_f32_16x16x32_fp8_fp8 v[84:87], a[160:161], v[240:241], v[84:87]// 00000000BA5C: D3F30054 0D53E1A0
	buffer_load_dwordx4 a[40:43], v38, s[24:27], 0 offen offset:2048// 00000000BA64: E05C1800 80862826
	v_mfma_f32_16x16x32_fp8_fp8 v[84:87], a[162:163], v[242:243], v[84:87]// 00000000BA6C: D3F30054 0D53E5A2
	ds_read_b64 v[48:49], v4 offset:1024                       // 00000000BA74: D8EC0400 30000004
	ds_read_b64 v[50:51], v4 offset:1152                       // 00000000BA7C: D8EC0480 32000004
	v_mfma_f32_16x16x32_fp8_fp8 v[84:87], a[164:165], v[244:245], v[84:87]// 00000000BA84: D3F30054 0D53E9A4
	v_mfma_f32_16x16x32_fp8_fp8 v[84:87], a[166:167], v[246:247], v[84:87]// 00000000BA8C: D3F30054 0D53EDA6
	ds_read_b64 v[52:53], v4 offset:1280                       // 00000000BA94: D8EC0500 34000004
	ds_read_b64 v[54:55], v4 offset:1408                       // 00000000BA9C: D8EC0580 36000004
	v_mfma_f32_16x16x32_fp8_fp8 v[84:87], a[168:169], v[248:249], v[84:87]// 00000000BAA4: D3F30054 0D53F1A8
	buffer_load_dwordx4 a[44:47], v38, s[24:27], 0 offen offset:3072// 00000000BAAC: E05C1C00 80862C26
	v_mfma_f32_16x16x32_fp8_fp8 v[84:87], a[170:171], v[250:251], v[84:87]// 00000000BAB4: D3F30054 0D53F5AA
	ds_read_b64 v[56:57], v4 offset:1536                       // 00000000BABC: D8EC0600 38000004
	ds_read_b64 v[58:59], v4 offset:1664                       // 00000000BAC4: D8EC0680 3A000004
	v_mfma_f32_16x16x32_fp8_fp8 v[84:87], a[172:173], v[252:253], v[84:87]// 00000000BACC: D3F30054 0D53F9AC
	v_mfma_f32_16x16x32_fp8_fp8 v[84:87], a[174:175], v[254:255], v[84:87]// 00000000BAD4: D3F30054 0D53FDAE
	ds_read_b64 v[60:61], v4 offset:1792                       // 00000000BADC: D8EC0700 3C000004
	ds_read_b64 v[62:63], v4 offset:1920                       // 00000000BAE4: D8EC0780 3E000004
	s_waitcnt vmcnt(28)                                        // 00000000BAEC: BF8C4F7C
	v_mfma_f32_16x16x32_fp8_fp8 v[88:91], a[176:177], v[224:225], v[88:91]// 00000000BAF0: D3F30058 0D63C1B0
	buffer_load_dwordx4 a[48:51], v39, s[24:27], 0 offen       // 00000000BAF8: E05C1000 80863027
	v_mfma_f32_16x16x32_fp8_fp8 v[88:91], a[178:179], v[226:227], v[88:91]// 00000000BB00: D3F30058 0D63C5B2
	v_mfma_f32_16x16x32_fp8_fp8 v[88:91], a[180:181], v[228:229], v[88:91]// 00000000BB08: D3F30058 0D63C9B4
	v_mfma_f32_16x16x32_fp8_fp8 v[88:91], a[182:183], v[230:231], v[88:91]// 00000000BB10: D3F30058 0D63CDB6
	v_mfma_f32_16x16x32_fp8_fp8 v[88:91], a[184:185], v[232:233], v[88:91]// 00000000BB18: D3F30058 0D63D1B8
	buffer_load_dwordx4 a[52:55], v39, s[24:27], 0 offen offset:1024// 00000000BB20: E05C1400 80863427
	v_mfma_f32_16x16x32_fp8_fp8 v[88:91], a[186:187], v[234:235], v[88:91]// 00000000BB28: D3F30058 0D63D5BA
	v_mfma_f32_16x16x32_fp8_fp8 v[88:91], a[188:189], v[236:237], v[88:91]// 00000000BB30: D3F30058 0D63D9BC
	v_mfma_f32_16x16x32_fp8_fp8 v[88:91], a[190:191], v[238:239], v[88:91]// 00000000BB38: D3F30058 0D63DDBE
	s_waitcnt lgkmcnt(0)                                       // 00000000BB40: BF8CC07F
	v_max3_f32 v22, |v48|, |v50|, v22                          // 00000000BB44: D1D30316 045A6530
	v_max3_f32 v23, |v49|, |v51|, v23                          // 00000000BB4C: D1D30317 045E6731
	v_max3_f32 v22, |v52|, |v54|, v22                          // 00000000BB54: D1D30316 045A6D34
	v_max3_f32 v23, |v53|, |v55|, v23                          // 00000000BB5C: D1D30317 045E6F35
	v_max3_f32 v22, |v56|, |v58|, v22                          // 00000000BB64: D1D30316 045A7538
	v_max3_f32 v23, |v57|, |v59|, v23                          // 00000000BB6C: D1D30317 045E7739
	v_max3_f32 v22, |v60|, |v62|, v22                          // 00000000BB74: D1D30316 045A7D3C
	v_max3_f32 v23, |v61|, |v63|, v23                          // 00000000BB7C: D1D30317 045E7F3D
	v_mov_b32_e32 v44, 0x43700000                              // 00000000BB84: 7E5802FF 43700000
	v_rcp_f32_e32 v22, v22                                     // 00000000BB8C: 7E2C4516
	v_rcp_f32_e32 v23, v23                                     // 00000000BB90: 7E2E4517
	s_nop 1                                                    // 00000000BB94: BF800001
	v_mul_f32_e32 v22, v44, v22                                // 00000000BB98: 0A2C2D2C
	v_mul_f32_e32 v23, v44, v23                                // 00000000BB9C: 0A2E2F2C
	v_rcp_f32_e32 v24, v22                                     // 00000000BBA0: 7E304516
	v_rcp_f32_e32 v25, v23                                     // 00000000BBA4: 7E324517
	v_mov_b32_e32 v44, v22                                     // 00000000BBA8: 7E580316
	v_mov_b32_e32 v45, v22                                     // 00000000BBAC: 7E5A0316
	v_mov_b32_e32 v46, v23                                     // 00000000BBB0: 7E5C0317
	v_mov_b32_e32 v47, v23                                     // 00000000BBB4: 7E5E0317
	v_mfma_f32_16x16x32_fp8_fp8 v[92:95], a[176:177], v[240:241], v[92:95]// 00000000BBB8: D3F3005C 0D73E1B0
	buffer_load_dwordx4 a[56:59], v39, s[24:27], 0 offen offset:2048// 00000000BBC0: E05C1800 80863827
	v_mfma_f32_16x16x32_fp8_fp8 v[92:95], a[178:179], v[242:243], v[92:95]// 00000000BBC8: D3F3005C 0D73E5B2
	v_mfma_f32_16x16x32_fp8_fp8 v[92:95], a[180:181], v[244:245], v[92:95]// 00000000BBD0: D3F3005C 0D73E9B4
	v_mfma_f32_16x16x32_fp8_fp8 v[92:95], a[182:183], v[246:247], v[92:95]// 00000000BBD8: D3F3005C 0D73EDB6
	v_mfma_f32_16x16x32_fp8_fp8 v[92:95], a[184:185], v[248:249], v[92:95]// 00000000BBE0: D3F3005C 0D73F1B8
	buffer_load_dwordx4 a[60:63], v39, s[24:27], 0 offen offset:3072// 00000000BBE8: E05C1C00 80863C27
	v_mfma_f32_16x16x32_fp8_fp8 v[92:95], a[186:187], v[250:251], v[92:95]// 00000000BBF0: D3F3005C 0D73F5BA
	v_mfma_f32_16x16x32_fp8_fp8 v[92:95], a[188:189], v[252:253], v[92:95]// 00000000BBF8: D3F3005C 0D73F9BC
	v_mfma_f32_16x16x32_fp8_fp8 v[92:95], a[190:191], v[254:255], v[92:95]// 00000000BC00: D3F3005C 0D73FDBE
	v_pk_mul_f32 v[192:193], v[44:45], v[192:193]              // 00000000BC08: D3B140C0 1803812C
	v_pk_mul_f32 v[194:195], v[44:45], v[194:195]              // 00000000BC10: D3B140C2 1803852C
	v_cvt_pk_fp8_f32 v192, v192, v193                          // 00000000BC18: D2A200C0 000383C0
	v_cvt_pk_fp8_f32 v192, v194, v195 op_sel:[0,0,1]           // 00000000BC20: D2A240C0 000387C2
	v_pk_mul_f32 v[196:197], v[46:47], v[196:197]              // 00000000BC28: D3B140C4 1803892E
	v_pk_mul_f32 v[198:199], v[46:47], v[198:199]              // 00000000BC30: D3B140C6 18038D2E
	v_cvt_pk_fp8_f32 v193, v196, v197                          // 00000000BC38: D2A200C1 00038BC4
	v_cvt_pk_fp8_f32 v193, v198, v199 op_sel:[0,0,1]           // 00000000BC40: D2A240C1 00038FC6
	s_waitcnt vmcnt(28)                                        // 00000000BC48: BF8C4F7C
	v_mfma_f32_16x16x32_fp8_fp8 v[96:99], a[192:193], v[224:225], v[96:99]// 00000000BC4C: D3F30060 0D83C1C0
	buffer_load_dwordx4 a[64:67], v40, s[24:27], 0 offen       // 00000000BC54: E05C1000 80864028
	v_mfma_f32_16x16x32_fp8_fp8 v[96:99], a[194:195], v[226:227], v[96:99]// 00000000BC5C: D3F30060 0D83C5C2
	v_mfma_f32_16x16x32_fp8_fp8 v[96:99], a[196:197], v[228:229], v[96:99]// 00000000BC64: D3F30060 0D83C9C4
	v_mfma_f32_16x16x32_fp8_fp8 v[96:99], a[198:199], v[230:231], v[96:99]// 00000000BC6C: D3F30060 0D83CDC6
	v_mfma_f32_16x16x32_fp8_fp8 v[96:99], a[200:201], v[232:233], v[96:99]// 00000000BC74: D3F30060 0D83D1C8
	buffer_load_dwordx4 a[68:71], v40, s[24:27], 0 offen offset:1024// 00000000BC7C: E05C1400 80864428
	v_mfma_f32_16x16x32_fp8_fp8 v[96:99], a[202:203], v[234:235], v[96:99]// 00000000BC84: D3F30060 0D83D5CA
	v_mfma_f32_16x16x32_fp8_fp8 v[96:99], a[204:205], v[236:237], v[96:99]// 00000000BC8C: D3F30060 0D83D9CC
	v_mfma_f32_16x16x32_fp8_fp8 v[96:99], a[206:207], v[238:239], v[96:99]// 00000000BC94: D3F30060 0D83DDCE
	v_pk_mul_f32 v[200:201], v[44:45], v[200:201]              // 00000000BC9C: D3B140C8 1803912C
	v_pk_mul_f32 v[202:203], v[44:45], v[202:203]              // 00000000BCA4: D3B140CA 1803952C
	v_cvt_pk_fp8_f32 v194, v200, v201                          // 00000000BCAC: D2A200C2 000393C8
	v_cvt_pk_fp8_f32 v194, v202, v203 op_sel:[0,0,1]           // 00000000BCB4: D2A240C2 000397CA
	v_pk_mul_f32 v[204:205], v[46:47], v[204:205]              // 00000000BCBC: D3B140CC 1803992E
	v_pk_mul_f32 v[206:207], v[46:47], v[206:207]              // 00000000BCC4: D3B140CE 18039D2E
	v_cvt_pk_fp8_f32 v195, v204, v205                          // 00000000BCCC: D2A200C3 00039BCC
	v_cvt_pk_fp8_f32 v195, v206, v207 op_sel:[0,0,1]           // 00000000BCD4: D2A240C3 00039FCE
	v_mfma_f32_16x16x32_fp8_fp8 v[100:103], a[192:193], v[240:241], v[100:103]// 00000000BCDC: D3F30064 0D93E1C0
	buffer_load_dwordx4 a[72:75], v40, s[24:27], 0 offen offset:2048// 00000000BCE4: E05C1800 80864828
	v_mfma_f32_16x16x32_fp8_fp8 v[100:103], a[194:195], v[242:243], v[100:103]// 00000000BCEC: D3F30064 0D93E5C2
	ds_write_b32 v12, v192 offset:2048                         // 00000000BCF4: D81A0800 0000C00C
	v_mfma_f32_16x16x32_fp8_fp8 v[100:103], a[196:197], v[244:245], v[100:103]// 00000000BCFC: D3F30064 0D93E9C4
	v_mfma_f32_16x16x32_fp8_fp8 v[100:103], a[198:199], v[246:247], v[100:103]// 00000000BD04: D3F30064 0D93EDC6
	ds_write_b32 v12, v193 offset:6144                         // 00000000BD0C: D81A1800 0000C10C
	v_mfma_f32_16x16x32_fp8_fp8 v[100:103], a[200:201], v[248:249], v[100:103]// 00000000BD14: D3F30064 0D93F1C8
	buffer_load_dwordx4 a[76:79], v40, s[24:27], 0 offen offset:3072// 00000000BD1C: E05C1C00 80864C28
	v_mfma_f32_16x16x32_fp8_fp8 v[100:103], a[202:203], v[250:251], v[100:103]// 00000000BD24: D3F30064 0D93F5CA
	ds_write_b32 v12, v194 offset:3072                         // 00000000BD2C: D81A0C00 0000C20C
	v_mfma_f32_16x16x32_fp8_fp8 v[100:103], a[204:205], v[252:253], v[100:103]// 00000000BD34: D3F30064 0D93F9CC
	v_mfma_f32_16x16x32_fp8_fp8 v[100:103], a[206:207], v[254:255], v[100:103]// 00000000BD3C: D3F30064 0D93FDCE
	ds_write_b32 v12, v195 offset:7168                         // 00000000BD44: D81A1C00 0000C30C
	v_pk_mul_f32 v[208:209], v[44:45], v[208:209]              // 00000000BD4C: D3B140D0 1803A12C
	v_pk_mul_f32 v[210:211], v[44:45], v[210:211]              // 00000000BD54: D3B140D2 1803A52C
	v_cvt_pk_fp8_f32 v196, v208, v209                          // 00000000BD5C: D2A200C4 0003A3D0
	v_cvt_pk_fp8_f32 v196, v210, v211 op_sel:[0,0,1]           // 00000000BD64: D2A240C4 0003A7D2
	v_pk_mul_f32 v[212:213], v[46:47], v[212:213]              // 00000000BD6C: D3B140D4 1803A92E
	v_pk_mul_f32 v[214:215], v[46:47], v[214:215]              // 00000000BD74: D3B140D6 1803AD2E
	v_cvt_pk_fp8_f32 v197, v212, v213                          // 00000000BD7C: D2A200C5 0003ABD4
	v_cvt_pk_fp8_f32 v197, v214, v215 op_sel:[0,0,1]           // 00000000BD84: D2A240C5 0003AFD6
	s_waitcnt vmcnt(28)                                        // 00000000BD8C: BF8C4F7C
	v_mfma_f32_16x16x32_fp8_fp8 v[104:107], a[208:209], v[224:225], v[104:107]// 00000000BD90: D3F30068 0DA3C1D0
	buffer_load_dwordx4 a[80:83], v41, s[24:27], 0 offen       // 00000000BD98: E05C1000 80865029
	v_mfma_f32_16x16x32_fp8_fp8 v[104:107], a[210:211], v[226:227], v[104:107]// 00000000BDA0: D3F30068 0DA3C5D2
	v_mfma_f32_16x16x32_fp8_fp8 v[104:107], a[212:213], v[228:229], v[104:107]// 00000000BDA8: D3F30068 0DA3C9D4
	v_mfma_f32_16x16x32_fp8_fp8 v[104:107], a[214:215], v[230:231], v[104:107]// 00000000BDB0: D3F30068 0DA3CDD6
	v_mfma_f32_16x16x32_fp8_fp8 v[104:107], a[216:217], v[232:233], v[104:107]// 00000000BDB8: D3F30068 0DA3D1D8
	buffer_load_dwordx4 a[84:87], v41, s[24:27], 0 offen offset:1024// 00000000BDC0: E05C1400 80865429
	v_mfma_f32_16x16x32_fp8_fp8 v[104:107], a[218:219], v[234:235], v[104:107]// 00000000BDC8: D3F30068 0DA3D5DA
	v_mfma_f32_16x16x32_fp8_fp8 v[104:107], a[220:221], v[236:237], v[104:107]// 00000000BDD0: D3F30068 0DA3D9DC
	v_mfma_f32_16x16x32_fp8_fp8 v[104:107], a[222:223], v[238:239], v[104:107]// 00000000BDD8: D3F30068 0DA3DDDE
	v_pk_mul_f32 v[216:217], v[44:45], v[216:217]              // 00000000BDE0: D3B140D8 1803B12C
	v_pk_mul_f32 v[218:219], v[44:45], v[218:219]              // 00000000BDE8: D3B140DA 1803B52C
	v_cvt_pk_fp8_f32 v198, v216, v217                          // 00000000BDF0: D2A200C6 0003B3D8
	v_cvt_pk_fp8_f32 v198, v218, v219 op_sel:[0,0,1]           // 00000000BDF8: D2A240C6 0003B7DA
	v_pk_mul_f32 v[220:221], v[46:47], v[220:221]              // 00000000BE00: D3B140DC 1803B92E
	v_pk_mul_f32 v[222:223], v[46:47], v[222:223]              // 00000000BE08: D3B140DE 1803BD2E
	v_cvt_pk_fp8_f32 v199, v220, v221                          // 00000000BE10: D2A200C7 0003BBDC
	v_cvt_pk_fp8_f32 v199, v222, v223 op_sel:[0,0,1]           // 00000000BE18: D2A240C7 0003BFDE
	v_mfma_f32_16x16x32_fp8_fp8 v[108:111], a[208:209], v[240:241], v[108:111]// 00000000BE20: D3F3006C 0DB3E1D0
	buffer_load_dwordx4 a[88:91], v41, s[24:27], 0 offen offset:2048// 00000000BE28: E05C1800 80865829
	v_mfma_f32_16x16x32_fp8_fp8 v[108:111], a[210:211], v[242:243], v[108:111]// 00000000BE30: D3F3006C 0DB3E5D2
	ds_write_b32 v12, v196 offset:4096                         // 00000000BE38: D81A1000 0000C40C
	v_mfma_f32_16x16x32_fp8_fp8 v[108:111], a[212:213], v[244:245], v[108:111]// 00000000BE40: D3F3006C 0DB3E9D4
	v_mfma_f32_16x16x32_fp8_fp8 v[108:111], a[214:215], v[246:247], v[108:111]// 00000000BE48: D3F3006C 0DB3EDD6
	ds_write_b32 v12, v197 offset:8192                         // 00000000BE50: D81A2000 0000C50C
	v_mfma_f32_16x16x32_fp8_fp8 v[108:111], a[216:217], v[248:249], v[108:111]// 00000000BE58: D3F3006C 0DB3F1D8
	buffer_load_dwordx4 a[92:95], v41, s[24:27], 0 offen offset:3072// 00000000BE60: E05C1C00 80865C29
	v_mfma_f32_16x16x32_fp8_fp8 v[108:111], a[218:219], v[250:251], v[108:111]// 00000000BE68: D3F3006C 0DB3F5DA
	ds_write_b32 v12, v198 offset:5120                         // 00000000BE70: D81A1400 0000C60C
	v_mfma_f32_16x16x32_fp8_fp8 v[108:111], a[220:221], v[252:253], v[108:111]// 00000000BE78: D3F3006C 0DB3F9DC
	v_mfma_f32_16x16x32_fp8_fp8 v[108:111], a[222:223], v[254:255], v[108:111]// 00000000BE80: D3F3006C 0DB3FDDE
	ds_write_b32 v12, v199 offset:9216                         // 00000000BE88: D81A2400 0000C70C
	s_waitcnt lgkmcnt(0)                                       // 00000000BE90: BF8CC07F
	s_barrier                                                  // 00000000BE94: BF8A0000
	s_waitcnt vmcnt(28)                                        // 00000000BE98: BF8C4F7C
	v_mfma_f32_16x16x32_fp8_fp8 v[112:115], a[224:225], v[224:225], v[112:115]// 00000000BE9C: D3F30070 0DC3C1E0
	buffer_load_dwordx4 a[96:99], v42, s[24:27], 0 offen       // 00000000BEA4: E05C1000 8086602A
	v_mfma_f32_16x16x32_fp8_fp8 v[112:115], a[226:227], v[226:227], v[112:115]// 00000000BEAC: D3F30070 0DC3C5E2
	ds_read_b64 v[192:193], v13 offset:2048                    // 00000000BEB4: D8EC0800 C000000D
	ds_read_b64 v[194:195], v13 offset:2176                    // 00000000BEBC: D8EC0880 C200000D
	v_mfma_f32_16x16x32_fp8_fp8 v[112:115], a[228:229], v[228:229], v[112:115]// 00000000BEC4: D3F30070 0DC3C9E4
	v_mfma_f32_16x16x32_fp8_fp8 v[112:115], a[230:231], v[230:231], v[112:115]// 00000000BECC: D3F30070 0DC3CDE6
	ds_read_b64 v[196:197], v13 offset:3072                    // 00000000BED4: D8EC0C00 C400000D
	ds_read_b64 v[198:199], v13 offset:3200                    // 00000000BEDC: D8EC0C80 C600000D
	v_mfma_f32_16x16x32_fp8_fp8 v[112:115], a[232:233], v[232:233], v[112:115]// 00000000BEE4: D3F30070 0DC3D1E8
	buffer_load_dwordx4 a[100:103], v42, s[24:27], 0 offen offset:1024// 00000000BEEC: E05C1400 8086642A
	v_mfma_f32_16x16x32_fp8_fp8 v[112:115], a[234:235], v[234:235], v[112:115]// 00000000BEF4: D3F30070 0DC3D5EA
	ds_read_b64 v[200:201], v13 offset:4096                    // 00000000BEFC: D8EC1000 C800000D
	ds_read_b64 v[202:203], v13 offset:4224                    // 00000000BF04: D8EC1080 CA00000D
	v_mfma_f32_16x16x32_fp8_fp8 v[112:115], a[236:237], v[236:237], v[112:115]// 00000000BF0C: D3F30070 0DC3D9EC
	v_mfma_f32_16x16x32_fp8_fp8 v[112:115], a[238:239], v[238:239], v[112:115]// 00000000BF14: D3F30070 0DC3DDEE
	ds_read_b64 v[204:205], v13 offset:5120                    // 00000000BF1C: D8EC1400 CC00000D
	ds_read_b64 v[206:207], v13 offset:5248                    // 00000000BF24: D8EC1480 CE00000D
	v_mfma_f32_16x16x32_fp8_fp8 v[116:119], a[224:225], v[240:241], v[116:119]// 00000000BF2C: D3F30074 0DD3E1E0
	buffer_load_dwordx4 a[104:107], v42, s[24:27], 0 offen offset:2048// 00000000BF34: E05C1800 8086682A
	v_mfma_f32_16x16x32_fp8_fp8 v[116:119], a[226:227], v[242:243], v[116:119]// 00000000BF3C: D3F30074 0DD3E5E2
	ds_read_b64 v[208:209], v13 offset:6144                    // 00000000BF44: D8EC1800 D000000D
	ds_read_b64 v[210:211], v13 offset:6272                    // 00000000BF4C: D8EC1880 D200000D
	v_mfma_f32_16x16x32_fp8_fp8 v[116:119], a[228:229], v[244:245], v[116:119]// 00000000BF54: D3F30074 0DD3E9E4
	v_mfma_f32_16x16x32_fp8_fp8 v[116:119], a[230:231], v[246:247], v[116:119]// 00000000BF5C: D3F30074 0DD3EDE6
	ds_read_b64 v[212:213], v13 offset:7168                    // 00000000BF64: D8EC1C00 D400000D
	ds_read_b64 v[214:215], v13 offset:7296                    // 00000000BF6C: D8EC1C80 D600000D
	v_mfma_f32_16x16x32_fp8_fp8 v[116:119], a[232:233], v[248:249], v[116:119]// 00000000BF74: D3F30074 0DD3F1E8
	buffer_load_dwordx4 a[108:111], v42, s[24:27], 0 offen offset:3072// 00000000BF7C: E05C1C00 80866C2A
	v_mfma_f32_16x16x32_fp8_fp8 v[116:119], a[234:235], v[250:251], v[116:119]// 00000000BF84: D3F30074 0DD3F5EA
	ds_read_b64 v[216:217], v13 offset:8192                    // 00000000BF8C: D8EC2000 D800000D
	ds_read_b64 v[218:219], v13 offset:8320                    // 00000000BF94: D8EC2080 DA00000D
	v_mfma_f32_16x16x32_fp8_fp8 v[116:119], a[236:237], v[252:253], v[116:119]// 00000000BF9C: D3F30074 0DD3F9EC
	v_mfma_f32_16x16x32_fp8_fp8 v[116:119], a[238:239], v[254:255], v[116:119]// 00000000BFA4: D3F30074 0DD3FDEE
	ds_read_b64 v[220:221], v13 offset:9216                    // 00000000BFAC: D8EC2400 DC00000D
	ds_read_b64 v[222:223], v13 offset:9344                    // 00000000BFB4: D8EC2480 DE00000D
	s_waitcnt vmcnt(28)                                        // 00000000BFBC: BF8C4F7C
	v_mfma_f32_16x16x32_fp8_fp8 v[120:123], a[240:241], v[224:225], v[120:123]// 00000000BFC0: D3F30078 0DE3C1F0
	buffer_load_dwordx4 a[112:115], v43, s[24:27], 0 offen     // 00000000BFC8: E05C1000 8086702B
	v_mfma_f32_16x16x32_fp8_fp8 v[120:123], a[242:243], v[226:227], v[120:123]// 00000000BFD0: D3F30078 0DE3C5F2
	v_mfma_f32_16x16x32_fp8_fp8 v[120:123], a[244:245], v[228:229], v[120:123]// 00000000BFD8: D3F30078 0DE3C9F4
	v_mfma_f32_16x16x32_fp8_fp8 v[120:123], a[246:247], v[230:231], v[120:123]// 00000000BFE0: D3F30078 0DE3CDF6
	v_mfma_f32_16x16x32_fp8_fp8 v[120:123], a[248:249], v[232:233], v[120:123]// 00000000BFE8: D3F30078 0DE3D1F8
	buffer_load_dwordx4 a[116:119], v43, s[24:27], 0 offen offset:1024// 00000000BFF0: E05C1400 8086742B
	v_mfma_f32_16x16x32_fp8_fp8 v[120:123], a[250:251], v[234:235], v[120:123]// 00000000BFF8: D3F30078 0DE3D5FA
	v_mfma_f32_16x16x32_fp8_fp8 v[120:123], a[252:253], v[236:237], v[120:123]// 00000000C000: D3F30078 0DE3D9FC
	v_mfma_f32_16x16x32_fp8_fp8 v[120:123], a[254:255], v[238:239], v[120:123]// 00000000C008: D3F30078 0DE3DDFE
	v_mfma_f32_16x16x32_fp8_fp8 v[124:127], a[240:241], v[240:241], v[124:127]// 00000000C010: D3F3007C 0DF3E1F0
	buffer_load_dwordx4 a[120:123], v43, s[24:27], 0 offen offset:2048// 00000000C018: E05C1800 8086782B
	v_mfma_f32_16x16x32_fp8_fp8 v[124:127], a[242:243], v[242:243], v[124:127]// 00000000C020: D3F3007C 0DF3E5F2
	v_mfma_f32_16x16x32_fp8_fp8 v[124:127], a[244:245], v[244:245], v[124:127]// 00000000C028: D3F3007C 0DF3E9F4
	v_mfma_f32_16x16x32_fp8_fp8 v[124:127], a[246:247], v[246:247], v[124:127]// 00000000C030: D3F3007C 0DF3EDF6
	v_mfma_f32_16x16x32_fp8_fp8 v[124:127], a[248:249], v[248:249], v[124:127]// 00000000C038: D3F3007C 0DF3F1F8
	buffer_load_dwordx4 a[124:127], v43, s[24:27], 0 offen offset:3072// 00000000C040: E05C1C00 80867C2B
	v_mfma_f32_16x16x32_fp8_fp8 v[124:127], a[250:251], v[250:251], v[124:127]// 00000000C048: D3F3007C 0DF3F5FA
	v_mfma_f32_16x16x32_fp8_fp8 v[124:127], a[252:253], v[252:253], v[124:127]// 00000000C050: D3F3007C 0DF3F9FC
	v_mfma_f32_16x16x32_fp8_fp8 v[124:127], a[254:255], v[254:255], v[124:127]// 00000000C058: D3F3007C 0DF3FDFE
	s_add_u32 s60, 0x200, s80                                  // 00000000C060: 803C50FF 00000200
	s_cmp_lt_u32 s60, s81                                      // 00000000C068: BF0A513C
	s_cselect_b32 s57, s57, 0                                  // 00000000C06C: 85398039
	s_cselect_b32 s91, s91, 0                                  // 00000000C070: 855B805B
	s_add_u32 s60, 0x200, s80                                  // 00000000C074: 803C50FF 00000200
	s_cmp_lt_u32 s60, s81                                      // 00000000C07C: BF0A513C
	s_cselect_b32 s58, s58, 0                                  // 00000000C080: 853A803A
	s_add_u32 s20, s57, s20                                    // 00000000C084: 80141439
	s_addc_u32 s21, 0, s21                                     // 00000000C088: 82151580
	s_add_u32 s28, s91, s28                                    // 00000000C08C: 801C1C5B
	s_addc_u32 s29, 0, s29                                     // 00000000C090: 821D1D80
	s_add_u32 s24, s58, s24                                    // 00000000C094: 8018183A
	s_addc_u32 s25, 0, s25                                     // 00000000C098: 82191980
	s_add_u32 s92, s90, s92                                    // 00000000C09C: 805C5C5A
	s_addc_u32 s93, 0, s93                                     // 00000000C0A0: 825D5D80
	v_mov_b32_e32 v44, v26                                     // 00000000C0A4: 7E58031A
	v_mov_b32_e32 v46, v27                                     // 00000000C0A8: 7E5C031B
	v_mov_b32_e32 v45, v44                                     // 00000000C0AC: 7E5A032C
	v_mov_b32_e32 v47, v46                                     // 00000000C0B0: 7E5E032E
	v_pk_mul_f32 v[64:65], v[44:45], v[64:65]                  // 00000000C0B4: D3B14040 1802812C
	v_pk_mul_f32 v[66:67], v[44:45], v[66:67]                  // 00000000C0BC: D3B14042 1802852C
	v_pk_mul_f32 v[68:69], v[46:47], v[68:69]                  // 00000000C0C4: D3B14044 1802892E
	v_pk_mul_f32 v[70:71], v[46:47], v[70:71]                  // 00000000C0CC: D3B14046 18028D2E
	v_pk_mul_f32 v[72:73], v[44:45], v[72:73]                  // 00000000C0D4: D3B14048 1802912C
	v_pk_mul_f32 v[74:75], v[44:45], v[74:75]                  // 00000000C0DC: D3B1404A 1802952C
	v_pk_mul_f32 v[76:77], v[46:47], v[76:77]                  // 00000000C0E4: D3B1404C 1802992E
	v_pk_mul_f32 v[78:79], v[46:47], v[78:79]                  // 00000000C0EC: D3B1404E 18029D2E
	v_pk_mul_f32 v[80:81], v[44:45], v[80:81]                  // 00000000C0F4: D3B14050 1802A12C
	v_pk_mul_f32 v[82:83], v[44:45], v[82:83]                  // 00000000C0FC: D3B14052 1802A52C
	v_pk_mul_f32 v[84:85], v[46:47], v[84:85]                  // 00000000C104: D3B14054 1802A92E
	v_pk_mul_f32 v[86:87], v[46:47], v[86:87]                  // 00000000C10C: D3B14056 1802AD2E
	v_pk_mul_f32 v[88:89], v[44:45], v[88:89]                  // 00000000C114: D3B14058 1802B12C
	v_pk_mul_f32 v[90:91], v[44:45], v[90:91]                  // 00000000C11C: D3B1405A 1802B52C
	v_pk_mul_f32 v[92:93], v[46:47], v[92:93]                  // 00000000C124: D3B1405C 1802B92E
	v_pk_mul_f32 v[94:95], v[46:47], v[94:95]                  // 00000000C12C: D3B1405E 1802BD2E
	v_pk_mul_f32 v[96:97], v[44:45], v[96:97]                  // 00000000C134: D3B14060 1802C12C
	v_pk_mul_f32 v[98:99], v[44:45], v[98:99]                  // 00000000C13C: D3B14062 1802C52C
	v_pk_mul_f32 v[100:101], v[46:47], v[100:101]              // 00000000C144: D3B14064 1802C92E
	v_pk_mul_f32 v[102:103], v[46:47], v[102:103]              // 00000000C14C: D3B14066 1802CD2E
	v_pk_mul_f32 v[104:105], v[44:45], v[104:105]              // 00000000C154: D3B14068 1802D12C
	v_pk_mul_f32 v[106:107], v[44:45], v[106:107]              // 00000000C15C: D3B1406A 1802D52C
	v_pk_mul_f32 v[108:109], v[46:47], v[108:109]              // 00000000C164: D3B1406C 1802D92E
	v_pk_mul_f32 v[110:111], v[46:47], v[110:111]              // 00000000C16C: D3B1406E 1802DD2E
	v_pk_mul_f32 v[112:113], v[44:45], v[112:113]              // 00000000C174: D3B14070 1802E12C
	v_pk_mul_f32 v[114:115], v[44:45], v[114:115]              // 00000000C17C: D3B14072 1802E52C
	v_pk_mul_f32 v[116:117], v[46:47], v[116:117]              // 00000000C184: D3B14074 1802E92E
	v_pk_mul_f32 v[118:119], v[46:47], v[118:119]              // 00000000C18C: D3B14076 1802ED2E
	v_pk_mul_f32 v[120:121], v[44:45], v[120:121]              // 00000000C194: D3B14078 1802F12C
	v_pk_mul_f32 v[122:123], v[44:45], v[122:123]              // 00000000C19C: D3B1407A 1802F52C
	v_pk_mul_f32 v[124:125], v[46:47], v[124:125]              // 00000000C1A4: D3B1407C 1802F92E
	v_pk_mul_f32 v[126:127], v[46:47], v[126:127]              // 00000000C1AC: D3B1407E 1802FD2E
	s_addk_i32 s80, 0x100                                      // 00000000C1B4: B7500100
	s_cmp_lt_i32 s80, s81                                      // 00000000C1B8: BF045150
	s_cbranch_scc0 label_25B1                                  // 00000000C1BC: BF840001
	s_branch label_1B08                                        // 00000000C1C0: BF82F557

000000000000c1c4 <label_25B1>:
	s_mov_b32 s36, -1                                          // 00000000C1C4: BEA400C1
	s_mov_b32 s37, -1                                          // 00000000C1C8: BEA500C1
	s_mov_b64 s[60:61], 0                                      // 00000000C1CC: BEBC0180
	s_cmp_lt_u32 s82, s66                                      // 00000000C1D0: BF0A4252
	s_cselect_b64 s[20:21], s[36:37], s[60:61]                 // 00000000C1D4: 85943C24
	s_cmp_lt_u32 s83, s66                                      // 00000000C1D8: BF0A4253
	s_cselect_b64 s[22:23], s[36:37], s[60:61]                 // 00000000C1DC: 85963C24
	s_cmp_lt_u32 s84, s66                                      // 00000000C1E0: BF0A4254
	s_cselect_b64 s[24:25], s[36:37], s[60:61]                 // 00000000C1E4: 85983C24
	s_cmp_lt_u32 s85, s66                                      // 00000000C1E8: BF0A4255
	s_cselect_b64 s[26:27], s[36:37], s[60:61]                 // 00000000C1EC: 859A3C24
	s_cmp_lt_u32 s86, s66                                      // 00000000C1F0: BF0A4256
	s_cselect_b64 s[28:29], s[36:37], s[60:61]                 // 00000000C1F4: 859C3C24
	s_cmp_lt_u32 s87, s66                                      // 00000000C1F8: BF0A4257
	s_cselect_b64 s[30:31], s[36:37], s[60:61]                 // 00000000C1FC: 859E3C24
	s_cmp_lt_u32 s88, s66                                      // 00000000C200: BF0A4258
	s_cselect_b64 s[32:33], s[36:37], s[60:61]                 // 00000000C204: 85A03C24
	s_cmp_lt_u32 s89, s66                                      // 00000000C208: BF0A4259
	s_cselect_b64 s[34:35], s[36:37], s[60:61]                 // 00000000C20C: 85A23C24
	v_mov_b32_e32 v56, 0xbfcc4231                              // 00000000C210: 7E7002FF BFCC4231
	v_mov_b32_e32 v57, 0xbfcc4231                              // 00000000C218: 7E7202FF BFCC4231
	v_mov_b32_e32 v53, 0xffff0000                              // 00000000C220: 7E6A02FF FFFF0000
	v_mov_b32_e32 v54, 0x7fff0000                              // 00000000C228: 7E6C02FF 7FFF0000
	v_mov_b32_e32 v55, 0x7fff                                  // 00000000C230: 7E6E02FF 00007FFF
	s_mul_i32 s60, s5, 16                                      // 00000000C238: 923C9005
	s_mul_i32 s60, s60, s70                                    // 00000000C23C: 923C463C
	v_lshlrev_b32_e32 v48, 4, v0                               // 00000000C240: 24600084
	v_add_u32_e32 v48, s60, v48                                // 00000000C244: 6860603C
	s_mul_i32 s60, 64, s70                                     // 00000000C248: 923C46C0
	v_add_u32_e32 v49, s60, v48                                // 00000000C24C: 6862603C
	v_add_u32_e32 v50, s60, v49                                // 00000000C250: 6864623C
	v_add_u32_e32 v51, s60, v50                                // 00000000C254: 6866643C
	v_lshrrev_b32_e32 v44, 4, v0                               // 00000000C258: 20580084
	v_mul_i32_i24_e32 v3, 34, v44                              // 00000000C25C: 0C0658A2
	v_and_b32_e32 v44, 15, v0                                  // 00000000C260: 2658008F
	v_mul_i32_i24_e32 v45, 2, v44                              // 00000000C264: 0C5A5882
	v_add_u32_e32 v3, v45, v3                                  // 00000000C268: 6806072D
	s_mul_i32 s60, s5, 0x88                                    // 00000000C26C: 923CFF05 00000088
	v_add_u32_e32 v3, s60, v3                                  // 00000000C274: 6806063C
	v_lshlrev_b32_e32 v3, 2, v3                                // 00000000C278: 24060682
	v_lshrrev_b32_e32 v44, 1, v0                               // 00000000C27C: 20580081
	v_mul_i32_i24_e32 v4, 34, v44                              // 00000000C280: 0C0858A2
	v_and_b32_e32 v45, 1, v0                                   // 00000000C284: 265A0081
	v_add_u32_e32 v4, v45, v4                                  // 00000000C288: 6808092D
	s_mul_i32 s60, s5, 2                                       // 00000000C28C: 923C8205
	v_add_u32_e32 v4, s60, v4                                  // 00000000C290: 6808083C
	v_lshlrev_b32_e32 v4, 2, v4                                // 00000000C294: 24080882
	v_mul_f32_dpp v128, v16, v128 row_newbcast:0 row_mask:0xf bank_mask:0xf// 00000000C298: 0B0100FA FF015010
	v_mul_f32_dpp v129, v16, v129 row_newbcast:1 row_mask:0xf bank_mask:0xf// 00000000C2A0: 0B0302FA FF015110
	v_mul_f32_dpp v130, v16, v130 row_newbcast:2 row_mask:0xf bank_mask:0xf// 00000000C2A8: 0B0504FA FF015210
	v_mul_f32_dpp v131, v16, v131 row_newbcast:3 row_mask:0xf bank_mask:0xf// 00000000C2B0: 0B0706FA FF015310
	v_mul_f32_dpp v132, v16, v132 row_newbcast:0 row_mask:0xf bank_mask:0xf// 00000000C2B8: 0B0908FA FF015010
	v_mul_f32_dpp v133, v16, v133 row_newbcast:1 row_mask:0xf bank_mask:0xf// 00000000C2C0: 0B0B0AFA FF015110
	v_mul_f32_dpp v134, v16, v134 row_newbcast:2 row_mask:0xf bank_mask:0xf// 00000000C2C8: 0B0D0CFA FF015210
	v_mul_f32_dpp v135, v16, v135 row_newbcast:3 row_mask:0xf bank_mask:0xf// 00000000C2D0: 0B0F0EFA FF015310
	v_mul_f32_dpp v136, v16, v136 row_newbcast:4 row_mask:0xf bank_mask:0xf// 00000000C2D8: 0B1110FA FF015410
	v_mul_f32_dpp v137, v16, v137 row_newbcast:5 row_mask:0xf bank_mask:0xf// 00000000C2E0: 0B1312FA FF015510
	v_mul_f32_dpp v138, v16, v138 row_newbcast:6 row_mask:0xf bank_mask:0xf// 00000000C2E8: 0B1514FA FF015610
	v_mul_f32_dpp v139, v16, v139 row_newbcast:7 row_mask:0xf bank_mask:0xf// 00000000C2F0: 0B1716FA FF015710
	v_mul_f32_dpp v140, v16, v140 row_newbcast:4 row_mask:0xf bank_mask:0xf// 00000000C2F8: 0B1918FA FF015410
	v_mul_f32_dpp v141, v16, v141 row_newbcast:5 row_mask:0xf bank_mask:0xf// 00000000C300: 0B1B1AFA FF015510
	v_mul_f32_dpp v142, v16, v142 row_newbcast:6 row_mask:0xf bank_mask:0xf// 00000000C308: 0B1D1CFA FF015610
	v_mul_f32_dpp v143, v16, v143 row_newbcast:7 row_mask:0xf bank_mask:0xf// 00000000C310: 0B1F1EFA FF015710
	v_mul_f32_dpp v144, v16, v144 row_newbcast:8 row_mask:0xf bank_mask:0xf// 00000000C318: 0B2120FA FF015810
	v_mul_f32_dpp v145, v16, v145 row_newbcast:9 row_mask:0xf bank_mask:0xf// 00000000C320: 0B2322FA FF015910
	v_mul_f32_dpp v146, v16, v146 row_newbcast:10 row_mask:0xf bank_mask:0xf// 00000000C328: 0B2524FA FF015A10
	v_mul_f32_dpp v147, v16, v147 row_newbcast:11 row_mask:0xf bank_mask:0xf// 00000000C330: 0B2726FA FF015B10
	v_mul_f32_dpp v148, v16, v148 row_newbcast:8 row_mask:0xf bank_mask:0xf// 00000000C338: 0B2928FA FF015810
	v_mul_f32_dpp v149, v16, v149 row_newbcast:9 row_mask:0xf bank_mask:0xf// 00000000C340: 0B2B2AFA FF015910
	v_mul_f32_dpp v150, v16, v150 row_newbcast:10 row_mask:0xf bank_mask:0xf// 00000000C348: 0B2D2CFA FF015A10
	v_mul_f32_dpp v151, v16, v151 row_newbcast:11 row_mask:0xf bank_mask:0xf// 00000000C350: 0B2F2EFA FF015B10
	v_mul_f32_dpp v152, v16, v152 row_newbcast:12 row_mask:0xf bank_mask:0xf// 00000000C358: 0B3130FA FF015C10
	v_mul_f32_dpp v153, v16, v153 row_newbcast:13 row_mask:0xf bank_mask:0xf// 00000000C360: 0B3332FA FF015D10
	v_mul_f32_dpp v154, v16, v154 row_newbcast:14 row_mask:0xf bank_mask:0xf// 00000000C368: 0B3534FA FF015E10
	v_mul_f32_dpp v155, v16, v155 row_newbcast:15 row_mask:0xf bank_mask:0xf// 00000000C370: 0B3736FA FF015F10
	v_mul_f32_dpp v156, v16, v156 row_newbcast:12 row_mask:0xf bank_mask:0xf// 00000000C378: 0B3938FA FF015C10
	v_mul_f32_dpp v157, v16, v157 row_newbcast:13 row_mask:0xf bank_mask:0xf// 00000000C380: 0B3B3AFA FF015D10
	v_mul_f32_dpp v158, v16, v158 row_newbcast:14 row_mask:0xf bank_mask:0xf// 00000000C388: 0B3D3CFA FF015E10
	v_mul_f32_dpp v159, v16, v159 row_newbcast:15 row_mask:0xf bank_mask:0xf// 00000000C390: 0B3F3EFA FF015F10
	v_mul_f32_dpp v160, v17, v160 row_newbcast:0 row_mask:0xf bank_mask:0xf// 00000000C398: 0B4140FA FF015011
	v_mul_f32_dpp v161, v17, v161 row_newbcast:1 row_mask:0xf bank_mask:0xf// 00000000C3A0: 0B4342FA FF015111
	v_mul_f32_dpp v162, v17, v162 row_newbcast:2 row_mask:0xf bank_mask:0xf// 00000000C3A8: 0B4544FA FF015211
	v_mul_f32_dpp v163, v17, v163 row_newbcast:3 row_mask:0xf bank_mask:0xf// 00000000C3B0: 0B4746FA FF015311
	v_mul_f32_dpp v164, v17, v164 row_newbcast:0 row_mask:0xf bank_mask:0xf// 00000000C3B8: 0B4948FA FF015011
	v_mul_f32_dpp v165, v17, v165 row_newbcast:1 row_mask:0xf bank_mask:0xf// 00000000C3C0: 0B4B4AFA FF015111
	v_mul_f32_dpp v166, v17, v166 row_newbcast:2 row_mask:0xf bank_mask:0xf// 00000000C3C8: 0B4D4CFA FF015211
	v_mul_f32_dpp v167, v17, v167 row_newbcast:3 row_mask:0xf bank_mask:0xf// 00000000C3D0: 0B4F4EFA FF015311
	v_mul_f32_dpp v168, v17, v168 row_newbcast:4 row_mask:0xf bank_mask:0xf// 00000000C3D8: 0B5150FA FF015411
	v_mul_f32_dpp v169, v17, v169 row_newbcast:5 row_mask:0xf bank_mask:0xf// 00000000C3E0: 0B5352FA FF015511
	v_mul_f32_dpp v170, v17, v170 row_newbcast:6 row_mask:0xf bank_mask:0xf// 00000000C3E8: 0B5554FA FF015611
	v_mul_f32_dpp v171, v17, v171 row_newbcast:7 row_mask:0xf bank_mask:0xf// 00000000C3F0: 0B5756FA FF015711
	v_mul_f32_dpp v172, v17, v172 row_newbcast:4 row_mask:0xf bank_mask:0xf// 00000000C3F8: 0B5958FA FF015411
	v_mul_f32_dpp v173, v17, v173 row_newbcast:5 row_mask:0xf bank_mask:0xf// 00000000C400: 0B5B5AFA FF015511
	v_mul_f32_dpp v174, v17, v174 row_newbcast:6 row_mask:0xf bank_mask:0xf// 00000000C408: 0B5D5CFA FF015611
	v_mul_f32_dpp v175, v17, v175 row_newbcast:7 row_mask:0xf bank_mask:0xf// 00000000C410: 0B5F5EFA FF015711
	v_mul_f32_dpp v176, v17, v176 row_newbcast:8 row_mask:0xf bank_mask:0xf// 00000000C418: 0B6160FA FF015811
	v_mul_f32_dpp v177, v17, v177 row_newbcast:9 row_mask:0xf bank_mask:0xf// 00000000C420: 0B6362FA FF015911
	v_mul_f32_dpp v178, v17, v178 row_newbcast:10 row_mask:0xf bank_mask:0xf// 00000000C428: 0B6564FA FF015A11
	v_mul_f32_dpp v179, v17, v179 row_newbcast:11 row_mask:0xf bank_mask:0xf// 00000000C430: 0B6766FA FF015B11
	v_mul_f32_dpp v180, v17, v180 row_newbcast:8 row_mask:0xf bank_mask:0xf// 00000000C438: 0B6968FA FF015811
	v_mul_f32_dpp v181, v17, v181 row_newbcast:9 row_mask:0xf bank_mask:0xf// 00000000C440: 0B6B6AFA FF015911
	v_mul_f32_dpp v182, v17, v182 row_newbcast:10 row_mask:0xf bank_mask:0xf// 00000000C448: 0B6D6CFA FF015A11
	v_mul_f32_dpp v183, v17, v183 row_newbcast:11 row_mask:0xf bank_mask:0xf// 00000000C450: 0B6F6EFA FF015B11
	v_mul_f32_dpp v184, v17, v184 row_newbcast:12 row_mask:0xf bank_mask:0xf// 00000000C458: 0B7170FA FF015C11
	v_mul_f32_dpp v185, v17, v185 row_newbcast:13 row_mask:0xf bank_mask:0xf// 00000000C460: 0B7372FA FF015D11
	v_mul_f32_dpp v186, v17, v186 row_newbcast:14 row_mask:0xf bank_mask:0xf// 00000000C468: 0B7574FA FF015E11
	v_mul_f32_dpp v187, v17, v187 row_newbcast:15 row_mask:0xf bank_mask:0xf// 00000000C470: 0B7776FA FF015F11
	v_mul_f32_dpp v188, v17, v188 row_newbcast:12 row_mask:0xf bank_mask:0xf// 00000000C478: 0B7978FA FF015C11
	v_mul_f32_dpp v189, v17, v189 row_newbcast:13 row_mask:0xf bank_mask:0xf// 00000000C480: 0B7B7AFA FF015D11
	v_mul_f32_dpp v190, v17, v190 row_newbcast:14 row_mask:0xf bank_mask:0xf// 00000000C488: 0B7D7CFA FF015E11
	v_mul_f32_dpp v191, v17, v191 row_newbcast:15 row_mask:0xf bank_mask:0xf// 00000000C490: 0B7F7EFA FF015F11
	v_mul_f32_dpp v64, v8, v64 row_newbcast:0 row_mask:0xf bank_mask:0xf// 00000000C498: 0A8080FA FF015008
	v_mul_f32_dpp v65, v8, v65 row_newbcast:1 row_mask:0xf bank_mask:0xf// 00000000C4A0: 0A8282FA FF015108
	v_mul_f32_dpp v66, v8, v66 row_newbcast:2 row_mask:0xf bank_mask:0xf// 00000000C4A8: 0A8484FA FF015208
	v_mul_f32_dpp v67, v8, v67 row_newbcast:3 row_mask:0xf bank_mask:0xf// 00000000C4B0: 0A8686FA FF015308
	v_mul_f32_dpp v68, v8, v68 row_newbcast:0 row_mask:0xf bank_mask:0xf// 00000000C4B8: 0A8888FA FF015008
	v_mul_f32_dpp v69, v8, v69 row_newbcast:1 row_mask:0xf bank_mask:0xf// 00000000C4C0: 0A8A8AFA FF015108
	v_mul_f32_dpp v70, v8, v70 row_newbcast:2 row_mask:0xf bank_mask:0xf// 00000000C4C8: 0A8C8CFA FF015208
	v_mul_f32_dpp v71, v8, v71 row_newbcast:3 row_mask:0xf bank_mask:0xf// 00000000C4D0: 0A8E8EFA FF015308
	v_mul_f32_dpp v72, v8, v72 row_newbcast:4 row_mask:0xf bank_mask:0xf// 00000000C4D8: 0A9090FA FF015408
	v_mul_f32_dpp v73, v8, v73 row_newbcast:5 row_mask:0xf bank_mask:0xf// 00000000C4E0: 0A9292FA FF015508
	v_mul_f32_dpp v74, v8, v74 row_newbcast:6 row_mask:0xf bank_mask:0xf// 00000000C4E8: 0A9494FA FF015608
	v_mul_f32_dpp v75, v8, v75 row_newbcast:7 row_mask:0xf bank_mask:0xf// 00000000C4F0: 0A9696FA FF015708
	v_mul_f32_dpp v76, v8, v76 row_newbcast:4 row_mask:0xf bank_mask:0xf// 00000000C4F8: 0A9898FA FF015408
	v_mul_f32_dpp v77, v8, v77 row_newbcast:5 row_mask:0xf bank_mask:0xf// 00000000C500: 0A9A9AFA FF015508
	v_mul_f32_dpp v78, v8, v78 row_newbcast:6 row_mask:0xf bank_mask:0xf// 00000000C508: 0A9C9CFA FF015608
	v_mul_f32_dpp v79, v8, v79 row_newbcast:7 row_mask:0xf bank_mask:0xf// 00000000C510: 0A9E9EFA FF015708
	v_mul_f32_dpp v80, v8, v80 row_newbcast:8 row_mask:0xf bank_mask:0xf// 00000000C518: 0AA0A0FA FF015808
	v_mul_f32_dpp v81, v8, v81 row_newbcast:9 row_mask:0xf bank_mask:0xf// 00000000C520: 0AA2A2FA FF015908
	v_mul_f32_dpp v82, v8, v82 row_newbcast:10 row_mask:0xf bank_mask:0xf// 00000000C528: 0AA4A4FA FF015A08
	v_mul_f32_dpp v83, v8, v83 row_newbcast:11 row_mask:0xf bank_mask:0xf// 00000000C530: 0AA6A6FA FF015B08
	v_mul_f32_dpp v84, v8, v84 row_newbcast:8 row_mask:0xf bank_mask:0xf// 00000000C538: 0AA8A8FA FF015808
	v_mul_f32_dpp v85, v8, v85 row_newbcast:9 row_mask:0xf bank_mask:0xf// 00000000C540: 0AAAAAFA FF015908
	v_mul_f32_dpp v86, v8, v86 row_newbcast:10 row_mask:0xf bank_mask:0xf// 00000000C548: 0AACACFA FF015A08
	v_mul_f32_dpp v87, v8, v87 row_newbcast:11 row_mask:0xf bank_mask:0xf// 00000000C550: 0AAEAEFA FF015B08
	v_mul_f32_dpp v88, v8, v88 row_newbcast:12 row_mask:0xf bank_mask:0xf// 00000000C558: 0AB0B0FA FF015C08
	v_mul_f32_dpp v89, v8, v89 row_newbcast:13 row_mask:0xf bank_mask:0xf// 00000000C560: 0AB2B2FA FF015D08
	v_mul_f32_dpp v90, v8, v90 row_newbcast:14 row_mask:0xf bank_mask:0xf// 00000000C568: 0AB4B4FA FF015E08
	v_mul_f32_dpp v91, v8, v91 row_newbcast:15 row_mask:0xf bank_mask:0xf// 00000000C570: 0AB6B6FA FF015F08
	v_mul_f32_dpp v92, v8, v92 row_newbcast:12 row_mask:0xf bank_mask:0xf// 00000000C578: 0AB8B8FA FF015C08
	v_mul_f32_dpp v93, v8, v93 row_newbcast:13 row_mask:0xf bank_mask:0xf// 00000000C580: 0ABABAFA FF015D08
	v_mul_f32_dpp v94, v8, v94 row_newbcast:14 row_mask:0xf bank_mask:0xf// 00000000C588: 0ABCBCFA FF015E08
	v_mul_f32_dpp v95, v8, v95 row_newbcast:15 row_mask:0xf bank_mask:0xf// 00000000C590: 0ABEBEFA FF015F08
	v_mul_f32_dpp v96, v9, v96 row_newbcast:0 row_mask:0xf bank_mask:0xf// 00000000C598: 0AC0C0FA FF015009
	v_mul_f32_dpp v97, v9, v97 row_newbcast:1 row_mask:0xf bank_mask:0xf// 00000000C5A0: 0AC2C2FA FF015109
	v_mul_f32_dpp v98, v9, v98 row_newbcast:2 row_mask:0xf bank_mask:0xf// 00000000C5A8: 0AC4C4FA FF015209
	v_mul_f32_dpp v99, v9, v99 row_newbcast:3 row_mask:0xf bank_mask:0xf// 00000000C5B0: 0AC6C6FA FF015309
	v_mul_f32_dpp v100, v9, v100 row_newbcast:0 row_mask:0xf bank_mask:0xf// 00000000C5B8: 0AC8C8FA FF015009
	v_mul_f32_dpp v101, v9, v101 row_newbcast:1 row_mask:0xf bank_mask:0xf// 00000000C5C0: 0ACACAFA FF015109
	v_mul_f32_dpp v102, v9, v102 row_newbcast:2 row_mask:0xf bank_mask:0xf// 00000000C5C8: 0ACCCCFA FF015209
	v_mul_f32_dpp v103, v9, v103 row_newbcast:3 row_mask:0xf bank_mask:0xf// 00000000C5D0: 0ACECEFA FF015309
	v_mul_f32_dpp v104, v9, v104 row_newbcast:4 row_mask:0xf bank_mask:0xf// 00000000C5D8: 0AD0D0FA FF015409
	v_mul_f32_dpp v105, v9, v105 row_newbcast:5 row_mask:0xf bank_mask:0xf// 00000000C5E0: 0AD2D2FA FF015509
	v_mul_f32_dpp v106, v9, v106 row_newbcast:6 row_mask:0xf bank_mask:0xf// 00000000C5E8: 0AD4D4FA FF015609
	v_mul_f32_dpp v107, v9, v107 row_newbcast:7 row_mask:0xf bank_mask:0xf// 00000000C5F0: 0AD6D6FA FF015709
	v_mul_f32_dpp v108, v9, v108 row_newbcast:4 row_mask:0xf bank_mask:0xf// 00000000C5F8: 0AD8D8FA FF015409
	v_mul_f32_dpp v109, v9, v109 row_newbcast:5 row_mask:0xf bank_mask:0xf// 00000000C600: 0ADADAFA FF015509
	v_mul_f32_dpp v110, v9, v110 row_newbcast:6 row_mask:0xf bank_mask:0xf// 00000000C608: 0ADCDCFA FF015609
	v_mul_f32_dpp v111, v9, v111 row_newbcast:7 row_mask:0xf bank_mask:0xf// 00000000C610: 0ADEDEFA FF015709
	v_mul_f32_dpp v112, v9, v112 row_newbcast:8 row_mask:0xf bank_mask:0xf// 00000000C618: 0AE0E0FA FF015809
	v_mul_f32_dpp v113, v9, v113 row_newbcast:9 row_mask:0xf bank_mask:0xf// 00000000C620: 0AE2E2FA FF015909
	v_mul_f32_dpp v114, v9, v114 row_newbcast:10 row_mask:0xf bank_mask:0xf// 00000000C628: 0AE4E4FA FF015A09
	v_mul_f32_dpp v115, v9, v115 row_newbcast:11 row_mask:0xf bank_mask:0xf// 00000000C630: 0AE6E6FA FF015B09
	v_mul_f32_dpp v116, v9, v116 row_newbcast:8 row_mask:0xf bank_mask:0xf// 00000000C638: 0AE8E8FA FF015809
	v_mul_f32_dpp v117, v9, v117 row_newbcast:9 row_mask:0xf bank_mask:0xf// 00000000C640: 0AEAEAFA FF015909
	v_mul_f32_dpp v118, v9, v118 row_newbcast:10 row_mask:0xf bank_mask:0xf// 00000000C648: 0AECECFA FF015A09
	v_mul_f32_dpp v119, v9, v119 row_newbcast:11 row_mask:0xf bank_mask:0xf// 00000000C650: 0AEEEEFA FF015B09
	v_mul_f32_dpp v120, v9, v120 row_newbcast:12 row_mask:0xf bank_mask:0xf// 00000000C658: 0AF0F0FA FF015C09
	v_mul_f32_dpp v121, v9, v121 row_newbcast:13 row_mask:0xf bank_mask:0xf// 00000000C660: 0AF2F2FA FF015D09
	v_mul_f32_dpp v122, v9, v122 row_newbcast:14 row_mask:0xf bank_mask:0xf// 00000000C668: 0AF4F4FA FF015E09
	v_mul_f32_dpp v123, v9, v123 row_newbcast:15 row_mask:0xf bank_mask:0xf// 00000000C670: 0AF6F6FA FF015F09
	v_mul_f32_dpp v124, v9, v124 row_newbcast:12 row_mask:0xf bank_mask:0xf// 00000000C678: 0AF8F8FA FF015C09
	v_mul_f32_dpp v125, v9, v125 row_newbcast:13 row_mask:0xf bank_mask:0xf// 00000000C680: 0AFAFAFA FF015D09
	v_mul_f32_dpp v126, v9, v126 row_newbcast:14 row_mask:0xf bank_mask:0xf// 00000000C688: 0AFCFCFA FF015E09
	v_mul_f32_dpp v127, v9, v127 row_newbcast:15 row_mask:0xf bank_mask:0xf// 00000000C690: 0AFEFEFA FF015F09
	s_waitcnt vmcnt(28)                                        // 00000000C698: BF8C4F7C
	buffer_load_dwordx4 a[0:3], v48, s[12:15], 0 offen         // 00000000C69C: E05C1000 80830030
	v_mul_f32_e64 v44, -v128, s6                               // 00000000C6A4: D105002C 20000D80
	v_mul_f32_e64 v45, -v129, s6                               // 00000000C6AC: D105002D 20000D81
	v_mul_f32_e64 v46, -v130, s6                               // 00000000C6B4: D105002E 20000D82
	v_mul_f32_e64 v47, -v131, s6                               // 00000000C6BC: D105002F 20000D83
	v_exp_f32_e32 v44, v44                                     // 00000000C6C4: 7E58412C
	v_exp_f32_e32 v45, v45                                     // 00000000C6C8: 7E5A412D
	v_exp_f32_e32 v46, v46                                     // 00000000C6CC: 7E5C412E
	v_exp_f32_e32 v47, v47                                     // 00000000C6D0: 7E5E412F
	buffer_load_dwordx4 a[4:7], v49, s[12:15], 0 offen         // 00000000C6D4: E05C1000 80830431
	v_add_f32_e64 v44, v44, 1.0                                // 00000000C6DC: D101002C 0001E52C
	v_add_f32_e64 v45, v45, 1.0                                // 00000000C6E4: D101002D 0001E52D
	v_add_f32_e64 v46, v46, 1.0                                // 00000000C6EC: D101002E 0001E52E
	v_add_f32_e64 v47, v47, 1.0                                // 00000000C6F4: D101002F 0001E52F
	v_rcp_f32_e32 v44, v44                                     // 00000000C6FC: 7E58452C
	v_rcp_f32_e32 v45, v45                                     // 00000000C700: 7E5A452D
	v_rcp_f32_e32 v46, v46                                     // 00000000C704: 7E5C452E
	v_rcp_f32_e32 v47, v47                                     // 00000000C708: 7E5E452F
	v_pk_mul_f32 v[128:129], v[128:129], v[44:45]              // 00000000C70C: D3B14080 18025980
	v_pk_mul_f32 v[130:131], v[130:131], v[46:47]              // 00000000C714: D3B14082 18025D82
	v_pk_mul_f32 v[128:129], v[128:129], v[64:65]              // 00000000C71C: D3B14080 18028180
	v_pk_mul_f32 v[130:131], v[130:131], v[66:67]              // 00000000C724: D3B14082 18028582
	buffer_load_dwordx4 a[8:11], v50, s[12:15], 0 offen        // 00000000C72C: E05C1000 80830832
	v_mul_f32_e64 v44, -v132, s6                               // 00000000C734: D105002C 20000D84
	v_mul_f32_e64 v45, -v133, s6                               // 00000000C73C: D105002D 20000D85
	v_mul_f32_e64 v46, -v134, s6                               // 00000000C744: D105002E 20000D86
	v_mul_f32_e64 v47, -v135, s6                               // 00000000C74C: D105002F 20000D87
	v_exp_f32_e32 v44, v44                                     // 00000000C754: 7E58412C
	v_exp_f32_e32 v45, v45                                     // 00000000C758: 7E5A412D
	v_exp_f32_e32 v46, v46                                     // 00000000C75C: 7E5C412E
	v_exp_f32_e32 v47, v47                                     // 00000000C760: 7E5E412F
	buffer_load_dwordx4 a[12:15], v51, s[12:15], 0 offen       // 00000000C764: E05C1000 80830C33
	s_add_u32 s12, s78, s12                                    // 00000000C76C: 800C0C4E
	s_addc_u32 s13, 0, s13                                     // 00000000C770: 820D0D80
	v_add_f32_e64 v44, v44, 1.0                                // 00000000C774: D101002C 0001E52C
	v_add_f32_e64 v45, v45, 1.0                                // 00000000C77C: D101002D 0001E52D
	v_add_f32_e64 v46, v46, 1.0                                // 00000000C784: D101002E 0001E52E
	v_add_f32_e64 v47, v47, 1.0                                // 00000000C78C: D101002F 0001E52F
	v_rcp_f32_e32 v44, v44                                     // 00000000C794: 7E58452C
	v_rcp_f32_e32 v45, v45                                     // 00000000C798: 7E5A452D
	v_rcp_f32_e32 v46, v46                                     // 00000000C79C: 7E5C452E
	v_rcp_f32_e32 v47, v47                                     // 00000000C7A0: 7E5E452F
	v_pk_mul_f32 v[132:133], v[132:133], v[44:45]              // 00000000C7A4: D3B14084 18025984
	v_pk_mul_f32 v[134:135], v[134:135], v[46:47]              // 00000000C7AC: D3B14086 18025D86
	v_pk_mul_f32 v[132:133], v[132:133], v[68:69]              // 00000000C7B4: D3B14084 18028984
	v_pk_mul_f32 v[134:135], v[134:135], v[70:71]              // 00000000C7BC: D3B14086 18028D86
	s_waitcnt vmcnt(28)                                        // 00000000C7C4: BF8C4F7C
	buffer_load_dwordx4 a[16:19], v48, s[12:15], 0 offen       // 00000000C7C8: E05C1000 80831030
	v_mul_f32_e64 v44, -v136, s6                               // 00000000C7D0: D105002C 20000D88
	v_mul_f32_e64 v45, -v137, s6                               // 00000000C7D8: D105002D 20000D89
	v_mul_f32_e64 v46, -v138, s6                               // 00000000C7E0: D105002E 20000D8A
	v_mul_f32_e64 v47, -v139, s6                               // 00000000C7E8: D105002F 20000D8B
	v_exp_f32_e32 v44, v44                                     // 00000000C7F0: 7E58412C
	v_exp_f32_e32 v45, v45                                     // 00000000C7F4: 7E5A412D
	v_exp_f32_e32 v46, v46                                     // 00000000C7F8: 7E5C412E
	v_exp_f32_e32 v47, v47                                     // 00000000C7FC: 7E5E412F
	buffer_load_dwordx4 a[20:23], v49, s[12:15], 0 offen       // 00000000C800: E05C1000 80831431
	v_add_f32_e64 v44, v44, 1.0                                // 00000000C808: D101002C 0001E52C
	v_add_f32_e64 v45, v45, 1.0                                // 00000000C810: D101002D 0001E52D
	v_add_f32_e64 v46, v46, 1.0                                // 00000000C818: D101002E 0001E52E
	v_add_f32_e64 v47, v47, 1.0                                // 00000000C820: D101002F 0001E52F
	v_rcp_f32_e32 v44, v44                                     // 00000000C828: 7E58452C
	v_rcp_f32_e32 v45, v45                                     // 00000000C82C: 7E5A452D
	v_rcp_f32_e32 v46, v46                                     // 00000000C830: 7E5C452E
	v_rcp_f32_e32 v47, v47                                     // 00000000C834: 7E5E452F
	v_pk_mul_f32 v[136:137], v[136:137], v[44:45]              // 00000000C838: D3B14088 18025988
	v_pk_mul_f32 v[138:139], v[138:139], v[46:47]              // 00000000C840: D3B1408A 18025D8A
	v_pk_mul_f32 v[136:137], v[136:137], v[72:73]              // 00000000C848: D3B14088 18029188
	v_pk_mul_f32 v[138:139], v[138:139], v[74:75]              // 00000000C850: D3B1408A 1802958A
	buffer_load_dwordx4 a[24:27], v50, s[12:15], 0 offen       // 00000000C858: E05C1000 80831832
	v_mul_f32_e64 v44, -v140, s6                               // 00000000C860: D105002C 20000D8C
	v_mul_f32_e64 v45, -v141, s6                               // 00000000C868: D105002D 20000D8D
	v_mul_f32_e64 v46, -v142, s6                               // 00000000C870: D105002E 20000D8E
	v_mul_f32_e64 v47, -v143, s6                               // 00000000C878: D105002F 20000D8F
	v_exp_f32_e32 v44, v44                                     // 00000000C880: 7E58412C
	v_exp_f32_e32 v45, v45                                     // 00000000C884: 7E5A412D
	v_exp_f32_e32 v46, v46                                     // 00000000C888: 7E5C412E
	v_exp_f32_e32 v47, v47                                     // 00000000C88C: 7E5E412F
	buffer_load_dwordx4 a[28:31], v51, s[12:15], 0 offen       // 00000000C890: E05C1000 80831C33
	s_add_u32 s12, s78, s12                                    // 00000000C898: 800C0C4E
	s_addc_u32 s13, 0, s13                                     // 00000000C89C: 820D0D80
	v_add_f32_e64 v44, v44, 1.0                                // 00000000C8A0: D101002C 0001E52C
	v_add_f32_e64 v45, v45, 1.0                                // 00000000C8A8: D101002D 0001E52D
	v_add_f32_e64 v46, v46, 1.0                                // 00000000C8B0: D101002E 0001E52E
	v_add_f32_e64 v47, v47, 1.0                                // 00000000C8B8: D101002F 0001E52F
	v_rcp_f32_e32 v44, v44                                     // 00000000C8C0: 7E58452C
	v_rcp_f32_e32 v45, v45                                     // 00000000C8C4: 7E5A452D
	v_rcp_f32_e32 v46, v46                                     // 00000000C8C8: 7E5C452E
	v_rcp_f32_e32 v47, v47                                     // 00000000C8CC: 7E5E452F
	v_pk_mul_f32 v[140:141], v[140:141], v[44:45]              // 00000000C8D0: D3B1408C 1802598C
	v_pk_mul_f32 v[142:143], v[142:143], v[46:47]              // 00000000C8D8: D3B1408E 18025D8E
	v_pk_mul_f32 v[140:141], v[140:141], v[76:77]              // 00000000C8E0: D3B1408C 1802998C
	v_pk_mul_f32 v[142:143], v[142:143], v[78:79]              // 00000000C8E8: D3B1408E 18029D8E
	s_waitcnt vmcnt(28)                                        // 00000000C8F0: BF8C4F7C
	buffer_load_dwordx4 a[32:35], v48, s[12:15], 0 offen       // 00000000C8F4: E05C1000 80832030
	v_mul_f32_e64 v44, -v144, s6                               // 00000000C8FC: D105002C 20000D90
	v_mul_f32_e64 v45, -v145, s6                               // 00000000C904: D105002D 20000D91
	v_mul_f32_e64 v46, -v146, s6                               // 00000000C90C: D105002E 20000D92
	v_mul_f32_e64 v47, -v147, s6                               // 00000000C914: D105002F 20000D93
	v_exp_f32_e32 v44, v44                                     // 00000000C91C: 7E58412C
	v_exp_f32_e32 v45, v45                                     // 00000000C920: 7E5A412D
	v_exp_f32_e32 v46, v46                                     // 00000000C924: 7E5C412E
	v_exp_f32_e32 v47, v47                                     // 00000000C928: 7E5E412F
	buffer_load_dwordx4 a[36:39], v49, s[12:15], 0 offen       // 00000000C92C: E05C1000 80832431
	v_add_f32_e64 v44, v44, 1.0                                // 00000000C934: D101002C 0001E52C
	v_add_f32_e64 v45, v45, 1.0                                // 00000000C93C: D101002D 0001E52D
	v_add_f32_e64 v46, v46, 1.0                                // 00000000C944: D101002E 0001E52E
	v_add_f32_e64 v47, v47, 1.0                                // 00000000C94C: D101002F 0001E52F
	v_rcp_f32_e32 v44, v44                                     // 00000000C954: 7E58452C
	v_rcp_f32_e32 v45, v45                                     // 00000000C958: 7E5A452D
	v_rcp_f32_e32 v46, v46                                     // 00000000C95C: 7E5C452E
	v_rcp_f32_e32 v47, v47                                     // 00000000C960: 7E5E452F
	v_pk_mul_f32 v[144:145], v[144:145], v[44:45]              // 00000000C964: D3B14090 18025990
	v_pk_mul_f32 v[146:147], v[146:147], v[46:47]              // 00000000C96C: D3B14092 18025D92
	v_pk_mul_f32 v[144:145], v[144:145], v[80:81]              // 00000000C974: D3B14090 1802A190
	v_pk_mul_f32 v[146:147], v[146:147], v[82:83]              // 00000000C97C: D3B14092 1802A592
	buffer_load_dwordx4 a[40:43], v50, s[12:15], 0 offen       // 00000000C984: E05C1000 80832832
	v_mul_f32_e64 v44, -v148, s6                               // 00000000C98C: D105002C 20000D94
	v_mul_f32_e64 v45, -v149, s6                               // 00000000C994: D105002D 20000D95
	v_mul_f32_e64 v46, -v150, s6                               // 00000000C99C: D105002E 20000D96
	v_mul_f32_e64 v47, -v151, s6                               // 00000000C9A4: D105002F 20000D97
	v_exp_f32_e32 v44, v44                                     // 00000000C9AC: 7E58412C
	v_exp_f32_e32 v45, v45                                     // 00000000C9B0: 7E5A412D
	v_exp_f32_e32 v46, v46                                     // 00000000C9B4: 7E5C412E
	v_exp_f32_e32 v47, v47                                     // 00000000C9B8: 7E5E412F
	buffer_load_dwordx4 a[44:47], v51, s[12:15], 0 offen       // 00000000C9BC: E05C1000 80832C33
	s_add_u32 s12, s78, s12                                    // 00000000C9C4: 800C0C4E
	s_addc_u32 s13, 0, s13                                     // 00000000C9C8: 820D0D80
	v_add_f32_e64 v44, v44, 1.0                                // 00000000C9CC: D101002C 0001E52C
	v_add_f32_e64 v45, v45, 1.0                                // 00000000C9D4: D101002D 0001E52D
	v_add_f32_e64 v46, v46, 1.0                                // 00000000C9DC: D101002E 0001E52E
	v_add_f32_e64 v47, v47, 1.0                                // 00000000C9E4: D101002F 0001E52F
	v_rcp_f32_e32 v44, v44                                     // 00000000C9EC: 7E58452C
	v_rcp_f32_e32 v45, v45                                     // 00000000C9F0: 7E5A452D
	v_rcp_f32_e32 v46, v46                                     // 00000000C9F4: 7E5C452E
	v_rcp_f32_e32 v47, v47                                     // 00000000C9F8: 7E5E452F
	v_pk_mul_f32 v[148:149], v[148:149], v[44:45]              // 00000000C9FC: D3B14094 18025994
	v_pk_mul_f32 v[150:151], v[150:151], v[46:47]              // 00000000CA04: D3B14096 18025D96
	v_pk_mul_f32 v[148:149], v[148:149], v[84:85]              // 00000000CA0C: D3B14094 1802A994
	v_pk_mul_f32 v[150:151], v[150:151], v[86:87]              // 00000000CA14: D3B14096 1802AD96
	s_waitcnt vmcnt(28)                                        // 00000000CA1C: BF8C4F7C
	buffer_load_dwordx4 a[48:51], v48, s[12:15], 0 offen       // 00000000CA20: E05C1000 80833030
	v_mul_f32_e64 v44, -v152, s6                               // 00000000CA28: D105002C 20000D98
	v_mul_f32_e64 v45, -v153, s6                               // 00000000CA30: D105002D 20000D99
	v_mul_f32_e64 v46, -v154, s6                               // 00000000CA38: D105002E 20000D9A
	v_mul_f32_e64 v47, -v155, s6                               // 00000000CA40: D105002F 20000D9B
	v_exp_f32_e32 v44, v44                                     // 00000000CA48: 7E58412C
	v_exp_f32_e32 v45, v45                                     // 00000000CA4C: 7E5A412D
	v_exp_f32_e32 v46, v46                                     // 00000000CA50: 7E5C412E
	v_exp_f32_e32 v47, v47                                     // 00000000CA54: 7E5E412F
	buffer_load_dwordx4 a[52:55], v49, s[12:15], 0 offen       // 00000000CA58: E05C1000 80833431
	v_add_f32_e64 v44, v44, 1.0                                // 00000000CA60: D101002C 0001E52C
	v_add_f32_e64 v45, v45, 1.0                                // 00000000CA68: D101002D 0001E52D
	v_add_f32_e64 v46, v46, 1.0                                // 00000000CA70: D101002E 0001E52E
	v_add_f32_e64 v47, v47, 1.0                                // 00000000CA78: D101002F 0001E52F
	v_rcp_f32_e32 v44, v44                                     // 00000000CA80: 7E58452C
	v_rcp_f32_e32 v45, v45                                     // 00000000CA84: 7E5A452D
	v_rcp_f32_e32 v46, v46                                     // 00000000CA88: 7E5C452E
	v_rcp_f32_e32 v47, v47                                     // 00000000CA8C: 7E5E452F
	v_pk_mul_f32 v[152:153], v[152:153], v[44:45]              // 00000000CA90: D3B14098 18025998
	v_pk_mul_f32 v[154:155], v[154:155], v[46:47]              // 00000000CA98: D3B1409A 18025D9A
	v_pk_mul_f32 v[152:153], v[152:153], v[88:89]              // 00000000CAA0: D3B14098 1802B198
	v_pk_mul_f32 v[154:155], v[154:155], v[90:91]              // 00000000CAA8: D3B1409A 1802B59A
	buffer_load_dwordx4 a[56:59], v50, s[12:15], 0 offen       // 00000000CAB0: E05C1000 80833832
	v_mul_f32_e64 v44, -v156, s6                               // 00000000CAB8: D105002C 20000D9C
	v_mul_f32_e64 v45, -v157, s6                               // 00000000CAC0: D105002D 20000D9D
	v_mul_f32_e64 v46, -v158, s6                               // 00000000CAC8: D105002E 20000D9E
	v_mul_f32_e64 v47, -v159, s6                               // 00000000CAD0: D105002F 20000D9F
	v_exp_f32_e32 v44, v44                                     // 00000000CAD8: 7E58412C
	v_exp_f32_e32 v45, v45                                     // 00000000CADC: 7E5A412D
	v_exp_f32_e32 v46, v46                                     // 00000000CAE0: 7E5C412E
	v_exp_f32_e32 v47, v47                                     // 00000000CAE4: 7E5E412F
	buffer_load_dwordx4 a[60:63], v51, s[12:15], 0 offen       // 00000000CAE8: E05C1000 80833C33
	s_add_u32 s12, s78, s12                                    // 00000000CAF0: 800C0C4E
	s_addc_u32 s13, 0, s13                                     // 00000000CAF4: 820D0D80
	v_add_f32_e64 v44, v44, 1.0                                // 00000000CAF8: D101002C 0001E52C
	v_add_f32_e64 v45, v45, 1.0                                // 00000000CB00: D101002D 0001E52D
	v_add_f32_e64 v46, v46, 1.0                                // 00000000CB08: D101002E 0001E52E
	v_add_f32_e64 v47, v47, 1.0                                // 00000000CB10: D101002F 0001E52F
	v_rcp_f32_e32 v44, v44                                     // 00000000CB18: 7E58452C
	v_rcp_f32_e32 v45, v45                                     // 00000000CB1C: 7E5A452D
	v_rcp_f32_e32 v46, v46                                     // 00000000CB20: 7E5C452E
	v_rcp_f32_e32 v47, v47                                     // 00000000CB24: 7E5E452F
	v_pk_mul_f32 v[156:157], v[156:157], v[44:45]              // 00000000CB28: D3B1409C 1802599C
	v_pk_mul_f32 v[158:159], v[158:159], v[46:47]              // 00000000CB30: D3B1409E 18025D9E
	v_pk_mul_f32 v[156:157], v[156:157], v[92:93]              // 00000000CB38: D3B1409C 1802B99C
	v_pk_mul_f32 v[158:159], v[158:159], v[94:95]              // 00000000CB40: D3B1409E 1802BD9E
	s_waitcnt vmcnt(28)                                        // 00000000CB48: BF8C4F7C
	buffer_load_dwordx4 a[64:67], v48, s[12:15], 0 offen       // 00000000CB4C: E05C1000 80834030
	v_mul_f32_e64 v44, -v160, s6                               // 00000000CB54: D105002C 20000DA0
	v_mul_f32_e64 v45, -v161, s6                               // 00000000CB5C: D105002D 20000DA1
	v_mul_f32_e64 v46, -v162, s6                               // 00000000CB64: D105002E 20000DA2
	v_mul_f32_e64 v47, -v163, s6                               // 00000000CB6C: D105002F 20000DA3
	v_exp_f32_e32 v44, v44                                     // 00000000CB74: 7E58412C
	v_exp_f32_e32 v45, v45                                     // 00000000CB78: 7E5A412D
	v_exp_f32_e32 v46, v46                                     // 00000000CB7C: 7E5C412E
	v_exp_f32_e32 v47, v47                                     // 00000000CB80: 7E5E412F
	buffer_load_dwordx4 a[68:71], v49, s[12:15], 0 offen       // 00000000CB84: E05C1000 80834431
	v_add_f32_e64 v44, v44, 1.0                                // 00000000CB8C: D101002C 0001E52C
	v_add_f32_e64 v45, v45, 1.0                                // 00000000CB94: D101002D 0001E52D
	v_add_f32_e64 v46, v46, 1.0                                // 00000000CB9C: D101002E 0001E52E
	v_add_f32_e64 v47, v47, 1.0                                // 00000000CBA4: D101002F 0001E52F
	v_rcp_f32_e32 v44, v44                                     // 00000000CBAC: 7E58452C
	v_rcp_f32_e32 v45, v45                                     // 00000000CBB0: 7E5A452D
	v_rcp_f32_e32 v46, v46                                     // 00000000CBB4: 7E5C452E
	v_rcp_f32_e32 v47, v47                                     // 00000000CBB8: 7E5E452F
	v_pk_mul_f32 v[160:161], v[160:161], v[44:45]              // 00000000CBBC: D3B140A0 180259A0
	v_pk_mul_f32 v[162:163], v[162:163], v[46:47]              // 00000000CBC4: D3B140A2 18025DA2
	v_pk_mul_f32 v[160:161], v[160:161], v[96:97]              // 00000000CBCC: D3B140A0 1802C1A0
	v_pk_mul_f32 v[162:163], v[162:163], v[98:99]              // 00000000CBD4: D3B140A2 1802C5A2
	buffer_load_dwordx4 a[72:75], v50, s[12:15], 0 offen       // 00000000CBDC: E05C1000 80834832
	v_mul_f32_e64 v44, -v164, s6                               // 00000000CBE4: D105002C 20000DA4
	v_mul_f32_e64 v45, -v165, s6                               // 00000000CBEC: D105002D 20000DA5
	v_mul_f32_e64 v46, -v166, s6                               // 00000000CBF4: D105002E 20000DA6
	v_mul_f32_e64 v47, -v167, s6                               // 00000000CBFC: D105002F 20000DA7
	v_exp_f32_e32 v44, v44                                     // 00000000CC04: 7E58412C
	v_exp_f32_e32 v45, v45                                     // 00000000CC08: 7E5A412D
	v_exp_f32_e32 v46, v46                                     // 00000000CC0C: 7E5C412E
	v_exp_f32_e32 v47, v47                                     // 00000000CC10: 7E5E412F
	buffer_load_dwordx4 a[76:79], v51, s[12:15], 0 offen       // 00000000CC14: E05C1000 80834C33
	s_add_u32 s12, s78, s12                                    // 00000000CC1C: 800C0C4E
	s_addc_u32 s13, 0, s13                                     // 00000000CC20: 820D0D80
	v_add_f32_e64 v44, v44, 1.0                                // 00000000CC24: D101002C 0001E52C
	v_add_f32_e64 v45, v45, 1.0                                // 00000000CC2C: D101002D 0001E52D
	v_add_f32_e64 v46, v46, 1.0                                // 00000000CC34: D101002E 0001E52E
	v_add_f32_e64 v47, v47, 1.0                                // 00000000CC3C: D101002F 0001E52F
	v_rcp_f32_e32 v44, v44                                     // 00000000CC44: 7E58452C
	v_rcp_f32_e32 v45, v45                                     // 00000000CC48: 7E5A452D
	v_rcp_f32_e32 v46, v46                                     // 00000000CC4C: 7E5C452E
	v_rcp_f32_e32 v47, v47                                     // 00000000CC50: 7E5E452F
	v_pk_mul_f32 v[164:165], v[164:165], v[44:45]              // 00000000CC54: D3B140A4 180259A4
	v_pk_mul_f32 v[166:167], v[166:167], v[46:47]              // 00000000CC5C: D3B140A6 18025DA6
	v_pk_mul_f32 v[164:165], v[164:165], v[100:101]            // 00000000CC64: D3B140A4 1802C9A4
	v_pk_mul_f32 v[166:167], v[166:167], v[102:103]            // 00000000CC6C: D3B140A6 1802CDA6
	s_waitcnt vmcnt(28)                                        // 00000000CC74: BF8C4F7C
	buffer_load_dwordx4 a[80:83], v48, s[12:15], 0 offen       // 00000000CC78: E05C1000 80835030
	v_mul_f32_e64 v44, -v168, s6                               // 00000000CC80: D105002C 20000DA8
	v_mul_f32_e64 v45, -v169, s6                               // 00000000CC88: D105002D 20000DA9
	v_mul_f32_e64 v46, -v170, s6                               // 00000000CC90: D105002E 20000DAA
	v_mul_f32_e64 v47, -v171, s6                               // 00000000CC98: D105002F 20000DAB
	v_exp_f32_e32 v44, v44                                     // 00000000CCA0: 7E58412C
	v_exp_f32_e32 v45, v45                                     // 00000000CCA4: 7E5A412D
	v_exp_f32_e32 v46, v46                                     // 00000000CCA8: 7E5C412E
	v_exp_f32_e32 v47, v47                                     // 00000000CCAC: 7E5E412F
	buffer_load_dwordx4 a[84:87], v49, s[12:15], 0 offen       // 00000000CCB0: E05C1000 80835431
	v_add_f32_e64 v44, v44, 1.0                                // 00000000CCB8: D101002C 0001E52C
	v_add_f32_e64 v45, v45, 1.0                                // 00000000CCC0: D101002D 0001E52D
	v_add_f32_e64 v46, v46, 1.0                                // 00000000CCC8: D101002E 0001E52E
	v_add_f32_e64 v47, v47, 1.0                                // 00000000CCD0: D101002F 0001E52F
	v_rcp_f32_e32 v44, v44                                     // 00000000CCD8: 7E58452C
	v_rcp_f32_e32 v45, v45                                     // 00000000CCDC: 7E5A452D
	v_rcp_f32_e32 v46, v46                                     // 00000000CCE0: 7E5C452E
	v_rcp_f32_e32 v47, v47                                     // 00000000CCE4: 7E5E452F
	v_pk_mul_f32 v[168:169], v[168:169], v[44:45]              // 00000000CCE8: D3B140A8 180259A8
	v_pk_mul_f32 v[170:171], v[170:171], v[46:47]              // 00000000CCF0: D3B140AA 18025DAA
	v_pk_mul_f32 v[168:169], v[168:169], v[104:105]            // 00000000CCF8: D3B140A8 1802D1A8
	v_pk_mul_f32 v[170:171], v[170:171], v[106:107]            // 00000000CD00: D3B140AA 1802D5AA
	buffer_load_dwordx4 a[88:91], v50, s[12:15], 0 offen       // 00000000CD08: E05C1000 80835832
	v_mul_f32_e64 v44, -v172, s6                               // 00000000CD10: D105002C 20000DAC
	v_mul_f32_e64 v45, -v173, s6                               // 00000000CD18: D105002D 20000DAD
	v_mul_f32_e64 v46, -v174, s6                               // 00000000CD20: D105002E 20000DAE
	v_mul_f32_e64 v47, -v175, s6                               // 00000000CD28: D105002F 20000DAF
	v_exp_f32_e32 v44, v44                                     // 00000000CD30: 7E58412C
	v_exp_f32_e32 v45, v45                                     // 00000000CD34: 7E5A412D
	v_exp_f32_e32 v46, v46                                     // 00000000CD38: 7E5C412E
	v_exp_f32_e32 v47, v47                                     // 00000000CD3C: 7E5E412F
	buffer_load_dwordx4 a[92:95], v51, s[12:15], 0 offen       // 00000000CD40: E05C1000 80835C33
	s_add_u32 s12, s78, s12                                    // 00000000CD48: 800C0C4E
	s_addc_u32 s13, 0, s13                                     // 00000000CD4C: 820D0D80
	v_add_f32_e64 v44, v44, 1.0                                // 00000000CD50: D101002C 0001E52C
	v_add_f32_e64 v45, v45, 1.0                                // 00000000CD58: D101002D 0001E52D
	v_add_f32_e64 v46, v46, 1.0                                // 00000000CD60: D101002E 0001E52E
	v_add_f32_e64 v47, v47, 1.0                                // 00000000CD68: D101002F 0001E52F
	v_rcp_f32_e32 v44, v44                                     // 00000000CD70: 7E58452C
	v_rcp_f32_e32 v45, v45                                     // 00000000CD74: 7E5A452D
	v_rcp_f32_e32 v46, v46                                     // 00000000CD78: 7E5C452E
	v_rcp_f32_e32 v47, v47                                     // 00000000CD7C: 7E5E452F
	v_pk_mul_f32 v[172:173], v[172:173], v[44:45]              // 00000000CD80: D3B140AC 180259AC
	v_pk_mul_f32 v[174:175], v[174:175], v[46:47]              // 00000000CD88: D3B140AE 18025DAE
	v_pk_mul_f32 v[172:173], v[172:173], v[108:109]            // 00000000CD90: D3B140AC 1802D9AC
	v_pk_mul_f32 v[174:175], v[174:175], v[110:111]            // 00000000CD98: D3B140AE 1802DDAE
	s_waitcnt vmcnt(28)                                        // 00000000CDA0: BF8C4F7C
	buffer_load_dwordx4 a[96:99], v48, s[12:15], 0 offen       // 00000000CDA4: E05C1000 80836030
	v_mul_f32_e64 v44, -v176, s6                               // 00000000CDAC: D105002C 20000DB0
	v_mul_f32_e64 v45, -v177, s6                               // 00000000CDB4: D105002D 20000DB1
	v_mul_f32_e64 v46, -v178, s6                               // 00000000CDBC: D105002E 20000DB2
	v_mul_f32_e64 v47, -v179, s6                               // 00000000CDC4: D105002F 20000DB3
	v_exp_f32_e32 v44, v44                                     // 00000000CDCC: 7E58412C
	v_exp_f32_e32 v45, v45                                     // 00000000CDD0: 7E5A412D
	v_exp_f32_e32 v46, v46                                     // 00000000CDD4: 7E5C412E
	v_exp_f32_e32 v47, v47                                     // 00000000CDD8: 7E5E412F
	buffer_load_dwordx4 a[100:103], v49, s[12:15], 0 offen     // 00000000CDDC: E05C1000 80836431
	v_add_f32_e64 v44, v44, 1.0                                // 00000000CDE4: D101002C 0001E52C
	v_add_f32_e64 v45, v45, 1.0                                // 00000000CDEC: D101002D 0001E52D
	v_add_f32_e64 v46, v46, 1.0                                // 00000000CDF4: D101002E 0001E52E
	v_add_f32_e64 v47, v47, 1.0                                // 00000000CDFC: D101002F 0001E52F
	v_rcp_f32_e32 v44, v44                                     // 00000000CE04: 7E58452C
	v_rcp_f32_e32 v45, v45                                     // 00000000CE08: 7E5A452D
	v_rcp_f32_e32 v46, v46                                     // 00000000CE0C: 7E5C452E
	v_rcp_f32_e32 v47, v47                                     // 00000000CE10: 7E5E452F
	v_pk_mul_f32 v[176:177], v[176:177], v[44:45]              // 00000000CE14: D3B140B0 180259B0
	v_pk_mul_f32 v[178:179], v[178:179], v[46:47]              // 00000000CE1C: D3B140B2 18025DB2
	v_pk_mul_f32 v[176:177], v[176:177], v[112:113]            // 00000000CE24: D3B140B0 1802E1B0
	v_pk_mul_f32 v[178:179], v[178:179], v[114:115]            // 00000000CE2C: D3B140B2 1802E5B2
	buffer_load_dwordx4 a[104:107], v50, s[12:15], 0 offen     // 00000000CE34: E05C1000 80836832
	v_mul_f32_e64 v44, -v180, s6                               // 00000000CE3C: D105002C 20000DB4
	v_mul_f32_e64 v45, -v181, s6                               // 00000000CE44: D105002D 20000DB5
	v_mul_f32_e64 v46, -v182, s6                               // 00000000CE4C: D105002E 20000DB6
	v_mul_f32_e64 v47, -v183, s6                               // 00000000CE54: D105002F 20000DB7
	v_exp_f32_e32 v44, v44                                     // 00000000CE5C: 7E58412C
	v_exp_f32_e32 v45, v45                                     // 00000000CE60: 7E5A412D
	v_exp_f32_e32 v46, v46                                     // 00000000CE64: 7E5C412E
	v_exp_f32_e32 v47, v47                                     // 00000000CE68: 7E5E412F
	buffer_load_dwordx4 a[108:111], v51, s[12:15], 0 offen     // 00000000CE6C: E05C1000 80836C33
	s_add_u32 s12, s78, s12                                    // 00000000CE74: 800C0C4E
	s_addc_u32 s13, 0, s13                                     // 00000000CE78: 820D0D80
	v_add_f32_e64 v44, v44, 1.0                                // 00000000CE7C: D101002C 0001E52C
	v_add_f32_e64 v45, v45, 1.0                                // 00000000CE84: D101002D 0001E52D
	v_add_f32_e64 v46, v46, 1.0                                // 00000000CE8C: D101002E 0001E52E
	v_add_f32_e64 v47, v47, 1.0                                // 00000000CE94: D101002F 0001E52F
	v_rcp_f32_e32 v44, v44                                     // 00000000CE9C: 7E58452C
	v_rcp_f32_e32 v45, v45                                     // 00000000CEA0: 7E5A452D
	v_rcp_f32_e32 v46, v46                                     // 00000000CEA4: 7E5C452E
	v_rcp_f32_e32 v47, v47                                     // 00000000CEA8: 7E5E452F
	v_pk_mul_f32 v[180:181], v[180:181], v[44:45]              // 00000000CEAC: D3B140B4 180259B4
	v_pk_mul_f32 v[182:183], v[182:183], v[46:47]              // 00000000CEB4: D3B140B6 18025DB6
	v_pk_mul_f32 v[180:181], v[180:181], v[116:117]            // 00000000CEBC: D3B140B4 1802E9B4
	v_pk_mul_f32 v[182:183], v[182:183], v[118:119]            // 00000000CEC4: D3B140B6 1802EDB6
	s_waitcnt vmcnt(28)                                        // 00000000CECC: BF8C4F7C
	buffer_load_dwordx4 a[112:115], v48, s[12:15], 0 offen     // 00000000CED0: E05C1000 80837030
	v_mul_f32_e64 v44, -v184, s6                               // 00000000CED8: D105002C 20000DB8
	v_mul_f32_e64 v45, -v185, s6                               // 00000000CEE0: D105002D 20000DB9
	v_mul_f32_e64 v46, -v186, s6                               // 00000000CEE8: D105002E 20000DBA
	v_mul_f32_e64 v47, -v187, s6                               // 00000000CEF0: D105002F 20000DBB
	v_exp_f32_e32 v44, v44                                     // 00000000CEF8: 7E58412C
	v_exp_f32_e32 v45, v45                                     // 00000000CEFC: 7E5A412D
	v_exp_f32_e32 v46, v46                                     // 00000000CF00: 7E5C412E
	v_exp_f32_e32 v47, v47                                     // 00000000CF04: 7E5E412F
	buffer_load_dwordx4 a[116:119], v49, s[12:15], 0 offen     // 00000000CF08: E05C1000 80837431
	v_add_f32_e64 v44, v44, 1.0                                // 00000000CF10: D101002C 0001E52C
	v_add_f32_e64 v45, v45, 1.0                                // 00000000CF18: D101002D 0001E52D
	v_add_f32_e64 v46, v46, 1.0                                // 00000000CF20: D101002E 0001E52E
	v_add_f32_e64 v47, v47, 1.0                                // 00000000CF28: D101002F 0001E52F
	v_rcp_f32_e32 v44, v44                                     // 00000000CF30: 7E58452C
	v_rcp_f32_e32 v45, v45                                     // 00000000CF34: 7E5A452D
	v_rcp_f32_e32 v46, v46                                     // 00000000CF38: 7E5C452E
	v_rcp_f32_e32 v47, v47                                     // 00000000CF3C: 7E5E452F
	v_pk_mul_f32 v[184:185], v[184:185], v[44:45]              // 00000000CF40: D3B140B8 180259B8
	v_pk_mul_f32 v[186:187], v[186:187], v[46:47]              // 00000000CF48: D3B140BA 18025DBA
	v_pk_mul_f32 v[184:185], v[184:185], v[120:121]            // 00000000CF50: D3B140B8 1802F1B8
	v_pk_mul_f32 v[186:187], v[186:187], v[122:123]            // 00000000CF58: D3B140BA 1802F5BA
	buffer_load_dwordx4 a[120:123], v50, s[12:15], 0 offen     // 00000000CF60: E05C1000 80837832
	v_mul_f32_e64 v44, -v188, s6                               // 00000000CF68: D105002C 20000DBC
	v_mul_f32_e64 v45, -v189, s6                               // 00000000CF70: D105002D 20000DBD
	v_mul_f32_e64 v46, -v190, s6                               // 00000000CF78: D105002E 20000DBE
	v_mul_f32_e64 v47, -v191, s6                               // 00000000CF80: D105002F 20000DBF
	v_exp_f32_e32 v44, v44                                     // 00000000CF88: 7E58412C
	v_exp_f32_e32 v45, v45                                     // 00000000CF8C: 7E5A412D
	v_exp_f32_e32 v46, v46                                     // 00000000CF90: 7E5C412E
	v_exp_f32_e32 v47, v47                                     // 00000000CF94: 7E5E412F
	buffer_load_dwordx4 a[124:127], v51, s[12:15], 0 offen     // 00000000CF98: E05C1000 80837C33
	v_add_f32_e64 v44, v44, 1.0                                // 00000000CFA0: D101002C 0001E52C
	v_add_f32_e64 v45, v45, 1.0                                // 00000000CFA8: D101002D 0001E52D
	v_add_f32_e64 v46, v46, 1.0                                // 00000000CFB0: D101002E 0001E52E
	v_add_f32_e64 v47, v47, 1.0                                // 00000000CFB8: D101002F 0001E52F
	v_rcp_f32_e32 v44, v44                                     // 00000000CFC0: 7E58452C
	v_rcp_f32_e32 v45, v45                                     // 00000000CFC4: 7E5A452D
	v_rcp_f32_e32 v46, v46                                     // 00000000CFC8: 7E5C452E
	v_rcp_f32_e32 v47, v47                                     // 00000000CFCC: 7E5E452F
	v_pk_mul_f32 v[188:189], v[188:189], v[44:45]              // 00000000CFD0: D3B140BC 180259BC
	v_pk_mul_f32 v[190:191], v[190:191], v[46:47]              // 00000000CFD8: D3B140BE 18025DBE
	v_pk_mul_f32 v[188:189], v[188:189], v[124:125]            // 00000000CFE0: D3B140BC 1802F9BC
	v_pk_mul_f32 v[190:191], v[190:191], v[126:127]            // 00000000CFE8: D3B140BE 1802FDBE
	v_mul_f32_dpp v128, v18, v128 row_newbcast:0 row_mask:0xf bank_mask:0xf// 00000000CFF0: 0B0100FA FF015012
	v_mul_f32_dpp v129, v18, v129 row_newbcast:1 row_mask:0xf bank_mask:0xf// 00000000CFF8: 0B0302FA FF015112
	v_mul_f32_dpp v130, v18, v130 row_newbcast:2 row_mask:0xf bank_mask:0xf// 00000000D000: 0B0504FA FF015212
	v_mul_f32_dpp v131, v18, v131 row_newbcast:3 row_mask:0xf bank_mask:0xf// 00000000D008: 0B0706FA FF015312
	v_mul_f32_dpp v132, v18, v132 row_newbcast:0 row_mask:0xf bank_mask:0xf// 00000000D010: 0B0908FA FF015012
	v_mul_f32_dpp v133, v18, v133 row_newbcast:1 row_mask:0xf bank_mask:0xf// 00000000D018: 0B0B0AFA FF015112
	v_mul_f32_dpp v134, v18, v134 row_newbcast:2 row_mask:0xf bank_mask:0xf// 00000000D020: 0B0D0CFA FF015212
	v_mul_f32_dpp v135, v18, v135 row_newbcast:3 row_mask:0xf bank_mask:0xf// 00000000D028: 0B0F0EFA FF015312
	v_mul_f32_dpp v136, v18, v136 row_newbcast:4 row_mask:0xf bank_mask:0xf// 00000000D030: 0B1110FA FF015412
	v_mul_f32_dpp v137, v18, v137 row_newbcast:5 row_mask:0xf bank_mask:0xf// 00000000D038: 0B1312FA FF015512
	v_mul_f32_dpp v138, v18, v138 row_newbcast:6 row_mask:0xf bank_mask:0xf// 00000000D040: 0B1514FA FF015612
	v_mul_f32_dpp v139, v18, v139 row_newbcast:7 row_mask:0xf bank_mask:0xf// 00000000D048: 0B1716FA FF015712
	v_mul_f32_dpp v140, v18, v140 row_newbcast:4 row_mask:0xf bank_mask:0xf// 00000000D050: 0B1918FA FF015412
	v_mul_f32_dpp v141, v18, v141 row_newbcast:5 row_mask:0xf bank_mask:0xf// 00000000D058: 0B1B1AFA FF015512
	v_mul_f32_dpp v142, v18, v142 row_newbcast:6 row_mask:0xf bank_mask:0xf// 00000000D060: 0B1D1CFA FF015612
	v_mul_f32_dpp v143, v18, v143 row_newbcast:7 row_mask:0xf bank_mask:0xf// 00000000D068: 0B1F1EFA FF015712
	v_mul_f32_dpp v144, v18, v144 row_newbcast:8 row_mask:0xf bank_mask:0xf// 00000000D070: 0B2120FA FF015812
	v_mul_f32_dpp v145, v18, v145 row_newbcast:9 row_mask:0xf bank_mask:0xf// 00000000D078: 0B2322FA FF015912
	v_mul_f32_dpp v146, v18, v146 row_newbcast:10 row_mask:0xf bank_mask:0xf// 00000000D080: 0B2524FA FF015A12
	v_mul_f32_dpp v147, v18, v147 row_newbcast:11 row_mask:0xf bank_mask:0xf// 00000000D088: 0B2726FA FF015B12
	v_mul_f32_dpp v148, v18, v148 row_newbcast:8 row_mask:0xf bank_mask:0xf// 00000000D090: 0B2928FA FF015812
	v_mul_f32_dpp v149, v18, v149 row_newbcast:9 row_mask:0xf bank_mask:0xf// 00000000D098: 0B2B2AFA FF015912
	v_mul_f32_dpp v150, v18, v150 row_newbcast:10 row_mask:0xf bank_mask:0xf// 00000000D0A0: 0B2D2CFA FF015A12
	v_mul_f32_dpp v151, v18, v151 row_newbcast:11 row_mask:0xf bank_mask:0xf// 00000000D0A8: 0B2F2EFA FF015B12
	v_mul_f32_dpp v152, v18, v152 row_newbcast:12 row_mask:0xf bank_mask:0xf// 00000000D0B0: 0B3130FA FF015C12
	v_mul_f32_dpp v153, v18, v153 row_newbcast:13 row_mask:0xf bank_mask:0xf// 00000000D0B8: 0B3332FA FF015D12
	v_mul_f32_dpp v154, v18, v154 row_newbcast:14 row_mask:0xf bank_mask:0xf// 00000000D0C0: 0B3534FA FF015E12
	v_mul_f32_dpp v155, v18, v155 row_newbcast:15 row_mask:0xf bank_mask:0xf// 00000000D0C8: 0B3736FA FF015F12
	v_mul_f32_dpp v156, v18, v156 row_newbcast:12 row_mask:0xf bank_mask:0xf// 00000000D0D0: 0B3938FA FF015C12
	v_mul_f32_dpp v157, v18, v157 row_newbcast:13 row_mask:0xf bank_mask:0xf// 00000000D0D8: 0B3B3AFA FF015D12
	v_mul_f32_dpp v158, v18, v158 row_newbcast:14 row_mask:0xf bank_mask:0xf// 00000000D0E0: 0B3D3CFA FF015E12
	v_mul_f32_dpp v159, v18, v159 row_newbcast:15 row_mask:0xf bank_mask:0xf// 00000000D0E8: 0B3F3EFA FF015F12
	v_mul_f32_dpp v160, v19, v160 row_newbcast:0 row_mask:0xf bank_mask:0xf// 00000000D0F0: 0B4140FA FF015013
	v_mul_f32_dpp v161, v19, v161 row_newbcast:1 row_mask:0xf bank_mask:0xf// 00000000D0F8: 0B4342FA FF015113
	v_mul_f32_dpp v162, v19, v162 row_newbcast:2 row_mask:0xf bank_mask:0xf// 00000000D100: 0B4544FA FF015213
	v_mul_f32_dpp v163, v19, v163 row_newbcast:3 row_mask:0xf bank_mask:0xf// 00000000D108: 0B4746FA FF015313
	v_mul_f32_dpp v164, v19, v164 row_newbcast:0 row_mask:0xf bank_mask:0xf// 00000000D110: 0B4948FA FF015013
	v_mul_f32_dpp v165, v19, v165 row_newbcast:1 row_mask:0xf bank_mask:0xf// 00000000D118: 0B4B4AFA FF015113
	v_mul_f32_dpp v166, v19, v166 row_newbcast:2 row_mask:0xf bank_mask:0xf// 00000000D120: 0B4D4CFA FF015213
	v_mul_f32_dpp v167, v19, v167 row_newbcast:3 row_mask:0xf bank_mask:0xf// 00000000D128: 0B4F4EFA FF015313
	v_mul_f32_dpp v168, v19, v168 row_newbcast:4 row_mask:0xf bank_mask:0xf// 00000000D130: 0B5150FA FF015413
	v_mul_f32_dpp v169, v19, v169 row_newbcast:5 row_mask:0xf bank_mask:0xf// 00000000D138: 0B5352FA FF015513
	v_mul_f32_dpp v170, v19, v170 row_newbcast:6 row_mask:0xf bank_mask:0xf// 00000000D140: 0B5554FA FF015613
	v_mul_f32_dpp v171, v19, v171 row_newbcast:7 row_mask:0xf bank_mask:0xf// 00000000D148: 0B5756FA FF015713
	v_mul_f32_dpp v172, v19, v172 row_newbcast:4 row_mask:0xf bank_mask:0xf// 00000000D150: 0B5958FA FF015413
	v_mul_f32_dpp v173, v19, v173 row_newbcast:5 row_mask:0xf bank_mask:0xf// 00000000D158: 0B5B5AFA FF015513
	v_mul_f32_dpp v174, v19, v174 row_newbcast:6 row_mask:0xf bank_mask:0xf// 00000000D160: 0B5D5CFA FF015613
	v_mul_f32_dpp v175, v19, v175 row_newbcast:7 row_mask:0xf bank_mask:0xf// 00000000D168: 0B5F5EFA FF015713
	v_mul_f32_dpp v176, v19, v176 row_newbcast:8 row_mask:0xf bank_mask:0xf// 00000000D170: 0B6160FA FF015813
	v_mul_f32_dpp v177, v19, v177 row_newbcast:9 row_mask:0xf bank_mask:0xf// 00000000D178: 0B6362FA FF015913
	v_mul_f32_dpp v178, v19, v178 row_newbcast:10 row_mask:0xf bank_mask:0xf// 00000000D180: 0B6564FA FF015A13
	v_mul_f32_dpp v179, v19, v179 row_newbcast:11 row_mask:0xf bank_mask:0xf// 00000000D188: 0B6766FA FF015B13
	v_mul_f32_dpp v180, v19, v180 row_newbcast:8 row_mask:0xf bank_mask:0xf// 00000000D190: 0B6968FA FF015813
	v_mul_f32_dpp v181, v19, v181 row_newbcast:9 row_mask:0xf bank_mask:0xf// 00000000D198: 0B6B6AFA FF015913
	v_mul_f32_dpp v182, v19, v182 row_newbcast:10 row_mask:0xf bank_mask:0xf// 00000000D1A0: 0B6D6CFA FF015A13
	v_mul_f32_dpp v183, v19, v183 row_newbcast:11 row_mask:0xf bank_mask:0xf// 00000000D1A8: 0B6F6EFA FF015B13
	v_mul_f32_dpp v184, v19, v184 row_newbcast:12 row_mask:0xf bank_mask:0xf// 00000000D1B0: 0B7170FA FF015C13
	v_mul_f32_dpp v185, v19, v185 row_newbcast:13 row_mask:0xf bank_mask:0xf// 00000000D1B8: 0B7372FA FF015D13
	v_mul_f32_dpp v186, v19, v186 row_newbcast:14 row_mask:0xf bank_mask:0xf// 00000000D1C0: 0B7574FA FF015E13
	v_mul_f32_dpp v187, v19, v187 row_newbcast:15 row_mask:0xf bank_mask:0xf// 00000000D1C8: 0B7776FA FF015F13
	v_mul_f32_dpp v188, v19, v188 row_newbcast:12 row_mask:0xf bank_mask:0xf// 00000000D1D0: 0B7978FA FF015C13
	v_mul_f32_dpp v189, v19, v189 row_newbcast:13 row_mask:0xf bank_mask:0xf// 00000000D1D8: 0B7B7AFA FF015D13
	v_mul_f32_dpp v190, v19, v190 row_newbcast:14 row_mask:0xf bank_mask:0xf// 00000000D1E0: 0B7D7CFA FF015E13
	v_mul_f32_dpp v191, v19, v191 row_newbcast:15 row_mask:0xf bank_mask:0xf// 00000000D1E8: 0B7F7EFA FF015F13
	v_lshlrev_b32_e32 v44, 2, v0                               // 00000000D1F0: 24580082
	s_mul_i32 s60, s82, s71                                    // 00000000D1F4: 923C4752
	v_add_u32_e64 v80, v44, s60                                // 00000000D1F8: D1340050 0000792C
	v_mov_b32_e32 v81, 0                                       // 00000000D200: 7EA20280
	s_mul_i32 s60, s83, s71                                    // 00000000D204: 923C4753
	v_add_u32_e64 v82, v44, s60                                // 00000000D208: D1340052 0000792C
	v_mov_b32_e32 v83, 0                                       // 00000000D210: 7EA60280
	s_mul_i32 s60, s84, s71                                    // 00000000D214: 923C4754
	v_add_u32_e64 v84, v44, s60                                // 00000000D218: D1340054 0000792C
	v_mov_b32_e32 v85, 0                                       // 00000000D220: 7EAA0280
	s_mul_i32 s60, s85, s71                                    // 00000000D224: 923C4755
	v_add_u32_e64 v86, v44, s60                                // 00000000D228: D1340056 0000792C
	v_mov_b32_e32 v87, 0                                       // 00000000D230: 7EAE0280
	s_mul_i32 s60, s86, s71                                    // 00000000D234: 923C4756
	v_add_u32_e64 v88, v44, s60                                // 00000000D238: D1340058 0000792C
	v_mov_b32_e32 v89, 0                                       // 00000000D240: 7EB20280
	s_mul_i32 s60, s87, s71                                    // 00000000D244: 923C4757
	v_add_u32_e64 v90, v44, s60                                // 00000000D248: D134005A 0000792C
	v_mov_b32_e32 v91, 0                                       // 00000000D250: 7EB60280
	s_mul_i32 s60, s88, s71                                    // 00000000D254: 923C4758
	v_add_u32_e64 v92, v44, s60                                // 00000000D258: D134005C 0000792C
	v_mov_b32_e32 v93, 0                                       // 00000000D260: 7EBA0280
	s_mul_i32 s60, s89, s71                                    // 00000000D264: 923C4759
	v_add_u32_e64 v94, v44, s60                                // 00000000D268: D134005E 0000792C
	v_mov_b32_e32 v95, 0                                       // 00000000D270: 7EBE0280
	buffer_load_dword v12, v5, s[16:19], 0 offen               // 00000000D274: E0501000 80040C05
	v_mov_b32_e32 v22, 0x358637bd                              // 00000000D27C: 7E2C02FF 358637BD
	v_mov_b32_e32 v23, 0x358637bd                              // 00000000D284: 7E2E02FF 358637BD
	v_max3_f32 v22, |v128|, |v129|, v22                        // 00000000D28C: D1D30316 045B0380
	v_max3_f32 v22, |v130|, |v131|, v22                        // 00000000D294: D1D30316 045B0782
	v_max3_f32 v23, |v132|, |v133|, v23                        // 00000000D29C: D1D30317 045F0B84
	v_max3_f32 v23, |v134|, |v135|, v23                        // 00000000D2A4: D1D30317 045F0F86
	v_max3_f32 v22, |v136|, |v137|, v22                        // 00000000D2AC: D1D30316 045B1388
	v_max3_f32 v22, |v138|, |v139|, v22                        // 00000000D2B4: D1D30316 045B178A
	v_max3_f32 v23, |v140|, |v141|, v23                        // 00000000D2BC: D1D30317 045F1B8C
	v_max3_f32 v23, |v142|, |v143|, v23                        // 00000000D2C4: D1D30317 045F1F8E
	v_max3_f32 v22, |v144|, |v145|, v22                        // 00000000D2CC: D1D30316 045B2390
	v_max3_f32 v22, |v146|, |v147|, v22                        // 00000000D2D4: D1D30316 045B2792
	v_max3_f32 v23, |v148|, |v149|, v23                        // 00000000D2DC: D1D30317 045F2B94
	v_max3_f32 v23, |v150|, |v151|, v23                        // 00000000D2E4: D1D30317 045F2F96
	v_max3_f32 v22, |v152|, |v153|, v22                        // 00000000D2EC: D1D30316 045B3398
	v_max3_f32 v22, |v154|, |v155|, v22                        // 00000000D2F4: D1D30316 045B379A
	v_max3_f32 v23, |v156|, |v157|, v23                        // 00000000D2FC: D1D30317 045F3B9C
	v_max3_f32 v23, |v158|, |v159|, v23                        // 00000000D304: D1D30317 045F3F9E
	v_max3_f32 v22, |v160|, |v161|, v22                        // 00000000D30C: D1D30316 045B43A0
	v_max3_f32 v22, |v162|, |v163|, v22                        // 00000000D314: D1D30316 045B47A2
	v_max3_f32 v23, |v164|, |v165|, v23                        // 00000000D31C: D1D30317 045F4BA4
	v_max3_f32 v23, |v166|, |v167|, v23                        // 00000000D324: D1D30317 045F4FA6
	v_max3_f32 v22, |v168|, |v169|, v22                        // 00000000D32C: D1D30316 045B53A8
	v_max3_f32 v22, |v170|, |v171|, v22                        // 00000000D334: D1D30316 045B57AA
	v_max3_f32 v23, |v172|, |v173|, v23                        // 00000000D33C: D1D30317 045F5BAC
	v_max3_f32 v23, |v174|, |v175|, v23                        // 00000000D344: D1D30317 045F5FAE
	v_max3_f32 v22, |v176|, |v177|, v22                        // 00000000D34C: D1D30316 045B63B0
	v_max3_f32 v22, |v178|, |v179|, v22                        // 00000000D354: D1D30316 045B67B2
	v_max3_f32 v23, |v180|, |v181|, v23                        // 00000000D35C: D1D30317 045F6BB4
	v_max3_f32 v23, |v182|, |v183|, v23                        // 00000000D364: D1D30317 045F6FB6
	v_max3_f32 v22, |v184|, |v185|, v22                        // 00000000D36C: D1D30316 045B73B8
	v_max3_f32 v22, |v186|, |v187|, v22                        // 00000000D374: D1D30316 045B77BA
	v_max3_f32 v23, |v188|, |v189|, v23                        // 00000000D37C: D1D30317 045F7BBC
	v_max3_f32 v23, |v190|, |v191|, v23                        // 00000000D384: D1D30317 045F7FBE
	v_lshlrev_b32_e32 v44, 3, v0                               // 00000000D38C: 24580083
	s_mul_i32 s60, 0x200, s5                                   // 00000000D390: 923C05FF 00000200
	v_add_u32_e32 v44, s60, v44                                // 00000000D398: 6858583C
	ds_write_b64 v44, v[22:23]                                 // 00000000D39C: D89A0000 0000162C
	s_waitcnt lgkmcnt(0)                                       // 00000000D3A4: BF8CC07F
	s_barrier                                                  // 00000000D3A8: BF8A0000
	v_and_b32_e32 v44, 15, v0                                  // 00000000D3AC: 2658008F
	v_lshlrev_b32_e32 v44, 3, v44                              // 00000000D3B0: 24585883
	ds_read_b64 v[96:97], v44                                  // 00000000D3B4: D8EC0000 6000002C
	ds_read_b64 v[98:99], v44 offset:128                       // 00000000D3BC: D8EC0080 6200002C
	ds_read_b64 v[100:101], v44 offset:256                     // 00000000D3C4: D8EC0100 6400002C
	ds_read_b64 v[102:103], v44 offset:384                     // 00000000D3CC: D8EC0180 6600002C
	ds_read_b64 v[104:105], v44 offset:512                     // 00000000D3D4: D8EC0200 6800002C
	ds_read_b64 v[106:107], v44 offset:640                     // 00000000D3DC: D8EC0280 6A00002C
	ds_read_b64 v[108:109], v44 offset:768                     // 00000000D3E4: D8EC0300 6C00002C
	ds_read_b64 v[110:111], v44 offset:896                     // 00000000D3EC: D8EC0380 6E00002C
	ds_read_b64 v[112:113], v44 offset:1024                    // 00000000D3F4: D8EC0400 7000002C
	ds_read_b64 v[114:115], v44 offset:1152                    // 00000000D3FC: D8EC0480 7200002C
	ds_read_b64 v[116:117], v44 offset:1280                    // 00000000D404: D8EC0500 7400002C
	ds_read_b64 v[118:119], v44 offset:1408                    // 00000000D40C: D8EC0580 7600002C
	ds_read_b64 v[120:121], v44 offset:1536                    // 00000000D414: D8EC0600 7800002C
	ds_read_b64 v[122:123], v44 offset:1664                    // 00000000D41C: D8EC0680 7A00002C
	ds_read_b64 v[124:125], v44 offset:1792                    // 00000000D424: D8EC0700 7C00002C
	ds_read_b64 v[126:127], v44 offset:1920                    // 00000000D42C: D8EC0780 7E00002C
	s_waitcnt lgkmcnt(0)                                       // 00000000D434: BF8CC07F
	v_max3_f32 v22, |v96|, |v98|, v22                          // 00000000D438: D1D30316 045AC560
	v_max3_f32 v23, |v97|, |v99|, v23                          // 00000000D440: D1D30317 045EC761
	v_max3_f32 v22, |v100|, |v102|, v22                        // 00000000D448: D1D30316 045ACD64
	v_max3_f32 v23, |v101|, |v103|, v23                        // 00000000D450: D1D30317 045ECF65
	v_max3_f32 v22, |v104|, |v106|, v22                        // 00000000D458: D1D30316 045AD568
	v_max3_f32 v23, |v105|, |v107|, v23                        // 00000000D460: D1D30317 045ED769
	v_max3_f32 v22, |v108|, |v110|, v22                        // 00000000D468: D1D30316 045ADD6C
	v_max3_f32 v23, |v109|, |v111|, v23                        // 00000000D470: D1D30317 045EDF6D
	v_max3_f32 v22, |v112|, |v114|, v22                        // 00000000D478: D1D30316 045AE570
	v_max3_f32 v23, |v113|, |v115|, v23                        // 00000000D480: D1D30317 045EE771
	v_max3_f32 v22, |v116|, |v118|, v22                        // 00000000D488: D1D30316 045AED74
	v_max3_f32 v23, |v117|, |v119|, v23                        // 00000000D490: D1D30317 045EEF75
	v_max3_f32 v22, |v120|, |v122|, v22                        // 00000000D498: D1D30316 045AF578
	v_max3_f32 v23, |v121|, |v123|, v23                        // 00000000D4A0: D1D30317 045EF779
	v_max3_f32 v22, |v124|, |v126|, v22                        // 00000000D4A8: D1D30316 045AFD7C
	v_max3_f32 v23, |v125|, |v127|, v23                        // 00000000D4B0: D1D30317 045EFF7D
	v_rcp_f32_e32 v22, v22                                     // 00000000D4B8: 7E2C4516
	v_rcp_f32_e32 v23, v23                                     // 00000000D4BC: 7E2E4517
	v_mov_b32_e32 v44, 0x43700000                              // 00000000D4C0: 7E5802FF 43700000
	v_mul_f32_e32 v22, v44, v22                                // 00000000D4C8: 0A2C2D2C
	v_mul_f32_e32 v23, v44, v23                                // 00000000D4CC: 0A2E2F2C
	v_mul_f32_e32 v128, v22, v128                              // 00000000D4D0: 0B010116
	v_mul_f32_e32 v129, v22, v129                              // 00000000D4D4: 0B030316
	v_mul_f32_e32 v130, v22, v130                              // 00000000D4D8: 0B050516
	v_mul_f32_e32 v131, v22, v131                              // 00000000D4DC: 0B070716
	v_cvt_pk_fp8_f32 v128, v128, v129                          // 00000000D4E0: D2A20080 00030380
	v_cvt_pk_fp8_f32 v128, v130, v131 op_sel:[0,0,1]           // 00000000D4E8: D2A24080 00030782
	v_mul_f32_e32 v132, v23, v132                              // 00000000D4F0: 0B090917
	v_mul_f32_e32 v133, v23, v133                              // 00000000D4F4: 0B0B0B17
	v_mul_f32_e32 v134, v23, v134                              // 00000000D4F8: 0B0D0D17
	v_mul_f32_e32 v135, v23, v135                              // 00000000D4FC: 0B0F0F17
	v_cvt_pk_fp8_f32 v129, v132, v133                          // 00000000D500: D2A20081 00030B84
	v_cvt_pk_fp8_f32 v129, v134, v135 op_sel:[0,0,1]           // 00000000D508: D2A24081 00030F86
	v_mul_f32_e32 v136, v22, v136                              // 00000000D510: 0B111116
	v_mul_f32_e32 v137, v22, v137                              // 00000000D514: 0B131316
	v_mul_f32_e32 v138, v22, v138                              // 00000000D518: 0B151516
	v_mul_f32_e32 v139, v22, v139                              // 00000000D51C: 0B171716
	v_cvt_pk_fp8_f32 v130, v136, v137                          // 00000000D520: D2A20082 00031388
	v_cvt_pk_fp8_f32 v130, v138, v139 op_sel:[0,0,1]           // 00000000D528: D2A24082 0003178A
	v_mul_f32_e32 v140, v23, v140                              // 00000000D530: 0B191917
	v_mul_f32_e32 v141, v23, v141                              // 00000000D534: 0B1B1B17
	v_mul_f32_e32 v142, v23, v142                              // 00000000D538: 0B1D1D17
	v_mul_f32_e32 v143, v23, v143                              // 00000000D53C: 0B1F1F17
	v_cvt_pk_fp8_f32 v131, v140, v141                          // 00000000D540: D2A20083 00031B8C
	v_cvt_pk_fp8_f32 v131, v142, v143 op_sel:[0,0,1]           // 00000000D548: D2A24083 00031F8E
	v_mul_f32_e32 v144, v22, v144                              // 00000000D550: 0B212116
	v_mul_f32_e32 v145, v22, v145                              // 00000000D554: 0B232316
	v_mul_f32_e32 v146, v22, v146                              // 00000000D558: 0B252516
	v_mul_f32_e32 v147, v22, v147                              // 00000000D55C: 0B272716
	v_cvt_pk_fp8_f32 v132, v144, v145                          // 00000000D560: D2A20084 00032390
	v_cvt_pk_fp8_f32 v132, v146, v147 op_sel:[0,0,1]           // 00000000D568: D2A24084 00032792
	v_mul_f32_e32 v148, v23, v148                              // 00000000D570: 0B292917
	v_mul_f32_e32 v149, v23, v149                              // 00000000D574: 0B2B2B17
	v_mul_f32_e32 v150, v23, v150                              // 00000000D578: 0B2D2D17
	v_mul_f32_e32 v151, v23, v151                              // 00000000D57C: 0B2F2F17
	v_cvt_pk_fp8_f32 v133, v148, v149                          // 00000000D580: D2A20085 00032B94
	v_cvt_pk_fp8_f32 v133, v150, v151 op_sel:[0,0,1]           // 00000000D588: D2A24085 00032F96
	v_mul_f32_e32 v152, v22, v152                              // 00000000D590: 0B313116
	v_mul_f32_e32 v153, v22, v153                              // 00000000D594: 0B333316
	v_mul_f32_e32 v154, v22, v154                              // 00000000D598: 0B353516
	v_mul_f32_e32 v155, v22, v155                              // 00000000D59C: 0B373716
	v_cvt_pk_fp8_f32 v134, v152, v153                          // 00000000D5A0: D2A20086 00033398
	v_cvt_pk_fp8_f32 v134, v154, v155 op_sel:[0,0,1]           // 00000000D5A8: D2A24086 0003379A
	v_mul_f32_e32 v156, v23, v156                              // 00000000D5B0: 0B393917
	v_mul_f32_e32 v157, v23, v157                              // 00000000D5B4: 0B3B3B17
	v_mul_f32_e32 v158, v23, v158                              // 00000000D5B8: 0B3D3D17
	v_mul_f32_e32 v159, v23, v159                              // 00000000D5BC: 0B3F3F17
	v_cvt_pk_fp8_f32 v135, v156, v157                          // 00000000D5C0: D2A20087 00033B9C
	v_cvt_pk_fp8_f32 v135, v158, v159 op_sel:[0,0,1]           // 00000000D5C8: D2A24087 00033F9E
	v_mul_f32_e32 v160, v22, v160                              // 00000000D5D0: 0B414116
	v_mul_f32_e32 v161, v22, v161                              // 00000000D5D4: 0B434316
	v_mul_f32_e32 v162, v22, v162                              // 00000000D5D8: 0B454516
	v_mul_f32_e32 v163, v22, v163                              // 00000000D5DC: 0B474716
	v_cvt_pk_fp8_f32 v136, v160, v161                          // 00000000D5E0: D2A20088 000343A0
	v_cvt_pk_fp8_f32 v136, v162, v163 op_sel:[0,0,1]           // 00000000D5E8: D2A24088 000347A2
	v_mul_f32_e32 v164, v23, v164                              // 00000000D5F0: 0B494917
	v_mul_f32_e32 v165, v23, v165                              // 00000000D5F4: 0B4B4B17
	v_mul_f32_e32 v166, v23, v166                              // 00000000D5F8: 0B4D4D17
	v_mul_f32_e32 v167, v23, v167                              // 00000000D5FC: 0B4F4F17
	v_cvt_pk_fp8_f32 v137, v164, v165                          // 00000000D600: D2A20089 00034BA4
	v_cvt_pk_fp8_f32 v137, v166, v167 op_sel:[0,0,1]           // 00000000D608: D2A24089 00034FA6
	v_mul_f32_e32 v168, v22, v168                              // 00000000D610: 0B515116
	v_mul_f32_e32 v169, v22, v169                              // 00000000D614: 0B535316
	v_mul_f32_e32 v170, v22, v170                              // 00000000D618: 0B555516
	v_mul_f32_e32 v171, v22, v171                              // 00000000D61C: 0B575716
	v_cvt_pk_fp8_f32 v138, v168, v169                          // 00000000D620: D2A2008A 000353A8
	v_cvt_pk_fp8_f32 v138, v170, v171 op_sel:[0,0,1]           // 00000000D628: D2A2408A 000357AA
	v_mul_f32_e32 v172, v23, v172                              // 00000000D630: 0B595917
	v_mul_f32_e32 v173, v23, v173                              // 00000000D634: 0B5B5B17
	v_mul_f32_e32 v174, v23, v174                              // 00000000D638: 0B5D5D17
	v_mul_f32_e32 v175, v23, v175                              // 00000000D63C: 0B5F5F17
	v_cvt_pk_fp8_f32 v139, v172, v173                          // 00000000D640: D2A2008B 00035BAC
	v_cvt_pk_fp8_f32 v139, v174, v175 op_sel:[0,0,1]           // 00000000D648: D2A2408B 00035FAE
	v_mul_f32_e32 v176, v22, v176                              // 00000000D650: 0B616116
	v_mul_f32_e32 v177, v22, v177                              // 00000000D654: 0B636316
	v_mul_f32_e32 v178, v22, v178                              // 00000000D658: 0B656516
	v_mul_f32_e32 v179, v22, v179                              // 00000000D65C: 0B676716
	v_cvt_pk_fp8_f32 v140, v176, v177                          // 00000000D660: D2A2008C 000363B0
	v_cvt_pk_fp8_f32 v140, v178, v179 op_sel:[0,0,1]           // 00000000D668: D2A2408C 000367B2
	v_mul_f32_e32 v180, v23, v180                              // 00000000D670: 0B696917
	v_mul_f32_e32 v181, v23, v181                              // 00000000D674: 0B6B6B17
	v_mul_f32_e32 v182, v23, v182                              // 00000000D678: 0B6D6D17
	v_mul_f32_e32 v183, v23, v183                              // 00000000D67C: 0B6F6F17
	v_cvt_pk_fp8_f32 v141, v180, v181                          // 00000000D680: D2A2008D 00036BB4
	v_cvt_pk_fp8_f32 v141, v182, v183 op_sel:[0,0,1]           // 00000000D688: D2A2408D 00036FB6
	v_mul_f32_e32 v184, v22, v184                              // 00000000D690: 0B717116
	v_mul_f32_e32 v185, v22, v185                              // 00000000D694: 0B737316
	v_mul_f32_e32 v186, v22, v186                              // 00000000D698: 0B757516
	v_mul_f32_e32 v187, v22, v187                              // 00000000D69C: 0B777716
	v_cvt_pk_fp8_f32 v142, v184, v185                          // 00000000D6A0: D2A2008E 000373B8
	v_cvt_pk_fp8_f32 v142, v186, v187 op_sel:[0,0,1]           // 00000000D6A8: D2A2408E 000377BA
	v_mul_f32_e32 v188, v23, v188                              // 00000000D6B0: 0B797917
	v_mul_f32_e32 v189, v23, v189                              // 00000000D6B4: 0B7B7B17
	v_mul_f32_e32 v190, v23, v190                              // 00000000D6B8: 0B7D7D17
	v_mul_f32_e32 v191, v23, v191                              // 00000000D6BC: 0B7F7F17
	v_cvt_pk_fp8_f32 v143, v188, v189                          // 00000000D6C0: D2A2008F 00037BBC
	v_cvt_pk_fp8_f32 v143, v190, v191 op_sel:[0,0,1]           // 00000000D6C8: D2A2408F 00037FBE
	v_rcp_f32_e32 v24, v22                                     // 00000000D6D0: 7E304516
	v_rcp_f32_e32 v25, v23                                     // 00000000D6D4: 7E324517
	v_lshrrev_b32_e32 v44, 5, v0                               // 00000000D6D8: 20580085
	v_lshlrev_b32_e32 v45, 5, v44                              // 00000000D6DC: 245A5885
	v_and_b32_e32 v44, 31, v0                                  // 00000000D6E0: 2658009F
	v_lshrrev_b32_e32 v46, 4, v44                              // 00000000D6E4: 205C5884
	v_add_u32_e32 v45, v46, v45                                // 00000000D6E8: 685A5B2E
	v_and_b32_e32 v44, 15, v0                                  // 00000000D6EC: 2658008F
	v_lshlrev_b32_e32 v44, 1, v44                              // 00000000D6F0: 24585881
	v_add_u32_e32 v45, v44, v45                                // 00000000D6F4: 685A5B2C
	v_lshlrev_b32_e32 v44, 2, v45                              // 00000000D6F8: 24585A82
	s_mul_i32 s60, 0x100, s5                                   // 00000000D6FC: 923C05FF 00000100
	v_add_u32_e64 v44, v44, s60                                // 00000000D704: D134002C 0000792C
	ds_write_b32 v44, v128 offset:2048                         // 00000000D70C: D81A0800 0000802C
	ds_write_b32 v44, v129 offset:10240                        // 00000000D714: D81A2800 0000812C
	ds_write_b32 v44, v130 offset:3072                         // 00000000D71C: D81A0C00 0000822C
	ds_write_b32 v44, v131 offset:11264                        // 00000000D724: D81A2C00 0000832C
	ds_write_b32 v44, v132 offset:4096                         // 00000000D72C: D81A1000 0000842C
	ds_write_b32 v44, v133 offset:12288                        // 00000000D734: D81A3000 0000852C
	ds_write_b32 v44, v134 offset:5120                         // 00000000D73C: D81A1400 0000862C
	ds_write_b32 v44, v135 offset:13312                        // 00000000D744: D81A3400 0000872C
	ds_write_b32 v44, v136 offset:6144                         // 00000000D74C: D81A1800 0000882C
	ds_write_b32 v44, v137 offset:14336                        // 00000000D754: D81A3800 0000892C
	ds_write_b32 v44, v138 offset:7168                         // 00000000D75C: D81A1C00 00008A2C
	ds_write_b32 v44, v139 offset:15360                        // 00000000D764: D81A3C00 00008B2C
	ds_write_b32 v44, v140 offset:8192                         // 00000000D76C: D81A2000 00008C2C
	ds_write_b32 v44, v141 offset:16384                        // 00000000D774: D81A4000 00008D2C
	ds_write_b32 v44, v142 offset:9216                         // 00000000D77C: D81A2400 00008E2C
	ds_write_b32 v44, v143 offset:17408                        // 00000000D784: D81A4400 00008F2C
	s_waitcnt lgkmcnt(0)                                       // 00000000D78C: BF8CC07F
	s_barrier                                                  // 00000000D790: BF8A0000
	v_lshrrev_b32_e32 v44, 4, v0                               // 00000000D794: 20580084
	v_lshlrev_b32_e32 v45, 6, v44                              // 00000000D798: 245A5886
	v_and_b32_e32 v44, 15, v0                                  // 00000000D79C: 2658008F
	v_lshlrev_b32_e32 v44, 1, v44                              // 00000000D7A0: 24585881
	v_add_u32_e32 v45, v44, v45                                // 00000000D7A4: 685A5B2C
	v_lshlrev_b32_e32 v44, 2, v45                              // 00000000D7A8: 24585A82
	ds_read_b64 v[128:129], v44 offset:2048                    // 00000000D7AC: D8EC0800 8000002C
	ds_read_b64 v[130:131], v44 offset:2176                    // 00000000D7B4: D8EC0880 8200002C
	ds_read_b64 v[132:133], v44 offset:3072                    // 00000000D7BC: D8EC0C00 8400002C
	ds_read_b64 v[134:135], v44 offset:3200                    // 00000000D7C4: D8EC0C80 8600002C
	ds_read_b64 v[136:137], v44 offset:4096                    // 00000000D7CC: D8EC1000 8800002C
	ds_read_b64 v[138:139], v44 offset:4224                    // 00000000D7D4: D8EC1080 8A00002C
	ds_read_b64 v[140:141], v44 offset:5120                    // 00000000D7DC: D8EC1400 8C00002C
	ds_read_b64 v[142:143], v44 offset:5248                    // 00000000D7E4: D8EC1480 8E00002C
	ds_read_b64 v[144:145], v44 offset:6144                    // 00000000D7EC: D8EC1800 9000002C
	ds_read_b64 v[146:147], v44 offset:6272                    // 00000000D7F4: D8EC1880 9200002C
	ds_read_b64 v[148:149], v44 offset:7168                    // 00000000D7FC: D8EC1C00 9400002C
	ds_read_b64 v[150:151], v44 offset:7296                    // 00000000D804: D8EC1C80 9600002C
	ds_read_b64 v[152:153], v44 offset:8192                    // 00000000D80C: D8EC2000 9800002C
	ds_read_b64 v[154:155], v44 offset:8320                    // 00000000D814: D8EC2080 9A00002C
	ds_read_b64 v[156:157], v44 offset:9216                    // 00000000D81C: D8EC2400 9C00002C
	ds_read_b64 v[158:159], v44 offset:9344                    // 00000000D824: D8EC2480 9E00002C
	ds_read_b64 v[160:161], v44 offset:10240                   // 00000000D82C: D8EC2800 A000002C
	ds_read_b64 v[162:163], v44 offset:10368                   // 00000000D834: D8EC2880 A200002C
	ds_read_b64 v[164:165], v44 offset:11264                   // 00000000D83C: D8EC2C00 A400002C
	ds_read_b64 v[166:167], v44 offset:11392                   // 00000000D844: D8EC2C80 A600002C
	ds_read_b64 v[168:169], v44 offset:12288                   // 00000000D84C: D8EC3000 A800002C
	ds_read_b64 v[170:171], v44 offset:12416                   // 00000000D854: D8EC3080 AA00002C
	ds_read_b64 v[172:173], v44 offset:13312                   // 00000000D85C: D8EC3400 AC00002C
	ds_read_b64 v[174:175], v44 offset:13440                   // 00000000D864: D8EC3480 AE00002C
	ds_read_b64 v[176:177], v44 offset:14336                   // 00000000D86C: D8EC3800 B000002C
	ds_read_b64 v[178:179], v44 offset:14464                   // 00000000D874: D8EC3880 B200002C
	ds_read_b64 v[180:181], v44 offset:15360                   // 00000000D87C: D8EC3C00 B400002C
	ds_read_b64 v[182:183], v44 offset:15488                   // 00000000D884: D8EC3C80 B600002C
	ds_read_b64 v[184:185], v44 offset:16384                   // 00000000D88C: D8EC4000 B800002C
	ds_read_b64 v[186:187], v44 offset:16512                   // 00000000D894: D8EC4080 BA00002C
	ds_read_b64 v[188:189], v44 offset:17408                   // 00000000D89C: D8EC4400 BC00002C
	ds_read_b64 v[190:191], v44 offset:17536                   // 00000000D8A4: D8EC4480 BE00002C
	s_add_u32 s12, s56, s12                                    // 00000000D8AC: 800C0C38
	s_addc_u32 s13, 0, s13                                     // 00000000D8B0: 820D0D80
	s_add_u32 s16, s79, s16                                    // 00000000D8B4: 8010104F
	s_addc_u32 s17, 0, s17                                     // 00000000D8B8: 82111180
	s_mov_b32 s80, 0                                           // 00000000D8BC: BED00080
	s_waitcnt vmcnt(0) expcnt(0) lgkmcnt(0)                    // 00000000D8C0: BF8C0000

000000000000d8c4 <label_2B71>:
	s_waitcnt vmcnt(45)                                        // 00000000D8C4: BF8C8F7D
	s_barrier                                                  // 00000000D8C8: BF8A0000
	v_mfma_f32_16x16x32_fp8_fp8 v[192:195], a[0:1], v[128:129], 0// 00000000D8CC: D3F300C0 0A030100
	buffer_load_dwordx4 a[128:131], v48, s[12:15], 0 offen     // 00000000D8D4: E05C1000 80838030
	v_mfma_f32_16x16x32_fp8_fp8 v[192:195], a[2:3], v[130:131], v[192:195]// 00000000D8DC: D3F300C0 0F030502
	v_mfma_f32_16x16x32_fp8_fp8 v[196:199], a[0:1], v[160:161], 0// 00000000D8E4: D3F300C4 0A034100
	v_mfma_f32_16x16x32_fp8_fp8 v[196:199], a[2:3], v[162:163], v[196:199]// 00000000D8EC: D3F300C4 0F134502
	v_mfma_f32_16x16x32_fp8_fp8 v[200:203], a[4:5], v[128:129], 0// 00000000D8F4: D3F300C8 0A030104
	buffer_load_dwordx4 a[132:135], v49, s[12:15], 0 offen     // 00000000D8FC: E05C1000 80838431
	v_mfma_f32_16x16x32_fp8_fp8 v[200:203], a[6:7], v[130:131], v[200:203]// 00000000D904: D3F300C8 0F230506
	v_mfma_f32_16x16x32_fp8_fp8 v[204:207], a[4:5], v[160:161], 0// 00000000D90C: D3F300CC 0A034104
	v_mfma_f32_16x16x32_fp8_fp8 v[204:207], a[6:7], v[162:163], v[204:207]// 00000000D914: D3F300CC 0F334506
	v_mfma_f32_16x16x32_fp8_fp8 v[208:211], a[8:9], v[128:129], 0// 00000000D91C: D3F300D0 0A030108
	buffer_load_dwordx4 a[136:139], v50, s[12:15], 0 offen     // 00000000D924: E05C1000 80838832
	v_mfma_f32_16x16x32_fp8_fp8 v[208:211], a[10:11], v[130:131], v[208:211]// 00000000D92C: D3F300D0 0F43050A
	v_mfma_f32_16x16x32_fp8_fp8 v[212:215], a[8:9], v[160:161], 0// 00000000D934: D3F300D4 0A034108
	v_mfma_f32_16x16x32_fp8_fp8 v[212:215], a[10:11], v[162:163], v[212:215]// 00000000D93C: D3F300D4 0F53450A
	v_mfma_f32_16x16x32_fp8_fp8 v[216:219], a[12:13], v[128:129], 0// 00000000D944: D3F300D8 0A03010C
	buffer_load_dwordx4 a[140:143], v51, s[12:15], 0 offen     // 00000000D94C: E05C1000 80838C33
	s_add_u32 s12, s78, s12                                    // 00000000D954: 800C0C4E
	s_addc_u32 s13, 0, s13                                     // 00000000D958: 820D0D80
	v_mfma_f32_16x16x32_fp8_fp8 v[216:219], a[14:15], v[130:131], v[216:219]// 00000000D95C: D3F300D8 0F63050E
	v_mfma_f32_16x16x32_fp8_fp8 v[220:223], a[12:13], v[160:161], 0// 00000000D964: D3F300DC 0A03410C
	v_mfma_f32_16x16x32_fp8_fp8 v[220:223], a[14:15], v[162:163], v[220:223]// 00000000D96C: D3F300DC 0F73450E
	s_waitcnt vmcnt(45)                                        // 00000000D974: BF8C8F7D
	v_mfma_f32_16x16x32_fp8_fp8 v[192:195], a[16:17], v[132:133], v[192:195]// 00000000D978: D3F300C0 0F030910
	buffer_load_dwordx4 a[144:147], v48, s[12:15], 0 offen     // 00000000D980: E05C1000 80839030
	v_mfma_f32_16x16x32_fp8_fp8 v[192:195], a[18:19], v[134:135], v[192:195]// 00000000D988: D3F300C0 0F030D12
	v_mfma_f32_16x16x32_fp8_fp8 v[196:199], a[16:17], v[164:165], v[196:199]// 00000000D990: D3F300C4 0F134910
	v_mfma_f32_16x16x32_fp8_fp8 v[196:199], a[18:19], v[166:167], v[196:199]// 00000000D998: D3F300C4 0F134D12
	v_mfma_f32_16x16x32_fp8_fp8 v[200:203], a[20:21], v[132:133], v[200:203]// 00000000D9A0: D3F300C8 0F230914
	buffer_load_dwordx4 a[148:151], v49, s[12:15], 0 offen     // 00000000D9A8: E05C1000 80839431
	v_mfma_f32_16x16x32_fp8_fp8 v[200:203], a[22:23], v[134:135], v[200:203]// 00000000D9B0: D3F300C8 0F230D16
	v_mfma_f32_16x16x32_fp8_fp8 v[204:207], a[20:21], v[164:165], v[204:207]// 00000000D9B8: D3F300CC 0F334914
	v_mfma_f32_16x16x32_fp8_fp8 v[204:207], a[22:23], v[166:167], v[204:207]// 00000000D9C0: D3F300CC 0F334D16
	v_mfma_f32_16x16x32_fp8_fp8 v[208:211], a[24:25], v[132:133], v[208:211]// 00000000D9C8: D3F300D0 0F430918
	buffer_load_dwordx4 a[152:155], v50, s[12:15], 0 offen     // 00000000D9D0: E05C1000 80839832
	v_mfma_f32_16x16x32_fp8_fp8 v[208:211], a[26:27], v[134:135], v[208:211]// 00000000D9D8: D3F300D0 0F430D1A
	v_mfma_f32_16x16x32_fp8_fp8 v[212:215], a[24:25], v[164:165], v[212:215]// 00000000D9E0: D3F300D4 0F534918
	v_mfma_f32_16x16x32_fp8_fp8 v[212:215], a[26:27], v[166:167], v[212:215]// 00000000D9E8: D3F300D4 0F534D1A
	v_mfma_f32_16x16x32_fp8_fp8 v[216:219], a[28:29], v[132:133], v[216:219]// 00000000D9F0: D3F300D8 0F63091C
	buffer_load_dwordx4 a[156:159], v51, s[12:15], 0 offen     // 00000000D9F8: E05C1000 80839C33
	s_add_u32 s12, s78, s12                                    // 00000000DA00: 800C0C4E
	s_addc_u32 s13, 0, s13                                     // 00000000DA04: 820D0D80
	v_mfma_f32_16x16x32_fp8_fp8 v[216:219], a[30:31], v[134:135], v[216:219]// 00000000DA08: D3F300D8 0F630D1E
	v_mfma_f32_16x16x32_fp8_fp8 v[220:223], a[28:29], v[164:165], v[220:223]// 00000000DA10: D3F300DC 0F73491C
	v_mfma_f32_16x16x32_fp8_fp8 v[220:223], a[30:31], v[166:167], v[220:223]// 00000000DA18: D3F300DC 0F734D1E
	s_waitcnt vmcnt(45)                                        // 00000000DA20: BF8C8F7D
	v_mfma_f32_16x16x32_fp8_fp8 v[192:195], a[32:33], v[136:137], v[192:195]// 00000000DA24: D3F300C0 0F031120
	buffer_load_dwordx4 a[160:163], v48, s[12:15], 0 offen     // 00000000DA2C: E05C1000 8083A030
	v_mfma_f32_16x16x32_fp8_fp8 v[192:195], a[34:35], v[138:139], v[192:195]// 00000000DA34: D3F300C0 0F031522
	v_mfma_f32_16x16x32_fp8_fp8 v[196:199], a[32:33], v[168:169], v[196:199]// 00000000DA3C: D3F300C4 0F135120
	v_mfma_f32_16x16x32_fp8_fp8 v[196:199], a[34:35], v[170:171], v[196:199]// 00000000DA44: D3F300C4 0F135522
	v_mfma_f32_16x16x32_fp8_fp8 v[200:203], a[36:37], v[136:137], v[200:203]// 00000000DA4C: D3F300C8 0F231124
	buffer_load_dwordx4 a[164:167], v49, s[12:15], 0 offen     // 00000000DA54: E05C1000 8083A431
	v_mfma_f32_16x16x32_fp8_fp8 v[200:203], a[38:39], v[138:139], v[200:203]// 00000000DA5C: D3F300C8 0F231526
	v_mfma_f32_16x16x32_fp8_fp8 v[204:207], a[36:37], v[168:169], v[204:207]// 00000000DA64: D3F300CC 0F335124
	v_mfma_f32_16x16x32_fp8_fp8 v[204:207], a[38:39], v[170:171], v[204:207]// 00000000DA6C: D3F300CC 0F335526
	v_mfma_f32_16x16x32_fp8_fp8 v[208:211], a[40:41], v[136:137], v[208:211]// 00000000DA74: D3F300D0 0F431128
	buffer_load_dwordx4 a[168:171], v50, s[12:15], 0 offen     // 00000000DA7C: E05C1000 8083A832
	v_mfma_f32_16x16x32_fp8_fp8 v[208:211], a[42:43], v[138:139], v[208:211]// 00000000DA84: D3F300D0 0F43152A
	v_mfma_f32_16x16x32_fp8_fp8 v[212:215], a[40:41], v[168:169], v[212:215]// 00000000DA8C: D3F300D4 0F535128
	v_mfma_f32_16x16x32_fp8_fp8 v[212:215], a[42:43], v[170:171], v[212:215]// 00000000DA94: D3F300D4 0F53552A
	v_mfma_f32_16x16x32_fp8_fp8 v[216:219], a[44:45], v[136:137], v[216:219]// 00000000DA9C: D3F300D8 0F63112C
	buffer_load_dwordx4 a[172:175], v51, s[12:15], 0 offen     // 00000000DAA4: E05C1000 8083AC33
	s_add_u32 s12, s78, s12                                    // 00000000DAAC: 800C0C4E
	s_addc_u32 s13, 0, s13                                     // 00000000DAB0: 820D0D80
	v_mfma_f32_16x16x32_fp8_fp8 v[216:219], a[46:47], v[138:139], v[216:219]// 00000000DAB4: D3F300D8 0F63152E
	v_mfma_f32_16x16x32_fp8_fp8 v[220:223], a[44:45], v[168:169], v[220:223]// 00000000DABC: D3F300DC 0F73512C
	v_mfma_f32_16x16x32_fp8_fp8 v[220:223], a[46:47], v[170:171], v[220:223]// 00000000DAC4: D3F300DC 0F73552E
	s_waitcnt vmcnt(45)                                        // 00000000DACC: BF8C8F7D
	v_mfma_f32_16x16x32_fp8_fp8 v[192:195], a[48:49], v[140:141], v[192:195]// 00000000DAD0: D3F300C0 0F031930
	buffer_load_dwordx4 a[176:179], v48, s[12:15], 0 offen     // 00000000DAD8: E05C1000 8083B030
	v_mfma_f32_16x16x32_fp8_fp8 v[192:195], a[50:51], v[142:143], v[192:195]// 00000000DAE0: D3F300C0 0F031D32
	v_mfma_f32_16x16x32_fp8_fp8 v[196:199], a[48:49], v[172:173], v[196:199]// 00000000DAE8: D3F300C4 0F135930
	v_mfma_f32_16x16x32_fp8_fp8 v[196:199], a[50:51], v[174:175], v[196:199]// 00000000DAF0: D3F300C4 0F135D32
	v_mfma_f32_16x16x32_fp8_fp8 v[200:203], a[52:53], v[140:141], v[200:203]// 00000000DAF8: D3F300C8 0F231934
	buffer_load_dwordx4 a[180:183], v49, s[12:15], 0 offen     // 00000000DB00: E05C1000 8083B431
	v_mfma_f32_16x16x32_fp8_fp8 v[200:203], a[54:55], v[142:143], v[200:203]// 00000000DB08: D3F300C8 0F231D36
	v_mfma_f32_16x16x32_fp8_fp8 v[204:207], a[52:53], v[172:173], v[204:207]// 00000000DB10: D3F300CC 0F335934
	v_mfma_f32_16x16x32_fp8_fp8 v[204:207], a[54:55], v[174:175], v[204:207]// 00000000DB18: D3F300CC 0F335D36
	v_mfma_f32_16x16x32_fp8_fp8 v[208:211], a[56:57], v[140:141], v[208:211]// 00000000DB20: D3F300D0 0F431938
	buffer_load_dwordx4 a[184:187], v50, s[12:15], 0 offen     // 00000000DB28: E05C1000 8083B832
	v_mfma_f32_16x16x32_fp8_fp8 v[208:211], a[58:59], v[142:143], v[208:211]// 00000000DB30: D3F300D0 0F431D3A
	v_mfma_f32_16x16x32_fp8_fp8 v[212:215], a[56:57], v[172:173], v[212:215]// 00000000DB38: D3F300D4 0F535938
	v_mfma_f32_16x16x32_fp8_fp8 v[212:215], a[58:59], v[174:175], v[212:215]// 00000000DB40: D3F300D4 0F535D3A
	v_mfma_f32_16x16x32_fp8_fp8 v[216:219], a[60:61], v[140:141], v[216:219]// 00000000DB48: D3F300D8 0F63193C
	buffer_load_dwordx4 a[188:191], v51, s[12:15], 0 offen     // 00000000DB50: E05C1000 8083BC33
	s_add_u32 s12, s78, s12                                    // 00000000DB58: 800C0C4E
	s_addc_u32 s13, 0, s13                                     // 00000000DB5C: 820D0D80
	v_mfma_f32_16x16x32_fp8_fp8 v[216:219], a[62:63], v[142:143], v[216:219]// 00000000DB60: D3F300D8 0F631D3E
	v_mfma_f32_16x16x32_fp8_fp8 v[220:223], a[60:61], v[172:173], v[220:223]// 00000000DB68: D3F300DC 0F73593C
	v_mfma_f32_16x16x32_fp8_fp8 v[220:223], a[62:63], v[174:175], v[220:223]// 00000000DB70: D3F300DC 0F735D3E
	s_waitcnt vmcnt(45)                                        // 00000000DB78: BF8C8F7D
	v_mfma_f32_16x16x32_fp8_fp8 v[192:195], a[64:65], v[144:145], v[192:195]// 00000000DB7C: D3F300C0 0F032140
	buffer_load_dwordx4 a[192:195], v48, s[12:15], 0 offen     // 00000000DB84: E05C1000 8083C030
	v_mfma_f32_16x16x32_fp8_fp8 v[192:195], a[66:67], v[146:147], v[192:195]// 00000000DB8C: D3F300C0 0F032542
	v_mfma_f32_16x16x32_fp8_fp8 v[196:199], a[64:65], v[176:177], v[196:199]// 00000000DB94: D3F300C4 0F136140
	v_mfma_f32_16x16x32_fp8_fp8 v[196:199], a[66:67], v[178:179], v[196:199]// 00000000DB9C: D3F300C4 0F136542
	v_mfma_f32_16x16x32_fp8_fp8 v[200:203], a[68:69], v[144:145], v[200:203]// 00000000DBA4: D3F300C8 0F232144
	buffer_load_dwordx4 a[196:199], v49, s[12:15], 0 offen     // 00000000DBAC: E05C1000 8083C431
	v_mfma_f32_16x16x32_fp8_fp8 v[200:203], a[70:71], v[146:147], v[200:203]// 00000000DBB4: D3F300C8 0F232546
	v_mfma_f32_16x16x32_fp8_fp8 v[204:207], a[68:69], v[176:177], v[204:207]// 00000000DBBC: D3F300CC 0F336144
	v_mfma_f32_16x16x32_fp8_fp8 v[204:207], a[70:71], v[178:179], v[204:207]// 00000000DBC4: D3F300CC 0F336546
	v_mfma_f32_16x16x32_fp8_fp8 v[208:211], a[72:73], v[144:145], v[208:211]// 00000000DBCC: D3F300D0 0F432148
	buffer_load_dwordx4 a[200:203], v50, s[12:15], 0 offen     // 00000000DBD4: E05C1000 8083C832
	v_mfma_f32_16x16x32_fp8_fp8 v[208:211], a[74:75], v[146:147], v[208:211]// 00000000DBDC: D3F300D0 0F43254A
	v_mfma_f32_16x16x32_fp8_fp8 v[212:215], a[72:73], v[176:177], v[212:215]// 00000000DBE4: D3F300D4 0F536148
	v_mfma_f32_16x16x32_fp8_fp8 v[212:215], a[74:75], v[178:179], v[212:215]// 00000000DBEC: D3F300D4 0F53654A
	v_mfma_f32_16x16x32_fp8_fp8 v[216:219], a[76:77], v[144:145], v[216:219]// 00000000DBF4: D3F300D8 0F63214C
	buffer_load_dwordx4 a[204:207], v51, s[12:15], 0 offen     // 00000000DBFC: E05C1000 8083CC33
	s_add_u32 s12, s78, s12                                    // 00000000DC04: 800C0C4E
	s_addc_u32 s13, 0, s13                                     // 00000000DC08: 820D0D80
	v_mfma_f32_16x16x32_fp8_fp8 v[216:219], a[78:79], v[146:147], v[216:219]// 00000000DC0C: D3F300D8 0F63254E
	v_mfma_f32_16x16x32_fp8_fp8 v[220:223], a[76:77], v[176:177], v[220:223]// 00000000DC14: D3F300DC 0F73614C
	v_mfma_f32_16x16x32_fp8_fp8 v[220:223], a[78:79], v[178:179], v[220:223]// 00000000DC1C: D3F300DC 0F73654E
	s_waitcnt vmcnt(45)                                        // 00000000DC24: BF8C8F7D
	v_mfma_f32_16x16x32_fp8_fp8 v[192:195], a[80:81], v[148:149], v[192:195]// 00000000DC28: D3F300C0 0F032950
	buffer_load_dwordx4 a[208:211], v48, s[12:15], 0 offen     // 00000000DC30: E05C1000 8083D030
	v_mfma_f32_16x16x32_fp8_fp8 v[192:195], a[82:83], v[150:151], v[192:195]// 00000000DC38: D3F300C0 0F032D52
	v_mfma_f32_16x16x32_fp8_fp8 v[196:199], a[80:81], v[180:181], v[196:199]// 00000000DC40: D3F300C4 0F136950
	v_mfma_f32_16x16x32_fp8_fp8 v[196:199], a[82:83], v[182:183], v[196:199]// 00000000DC48: D3F300C4 0F136D52
	v_mfma_f32_16x16x32_fp8_fp8 v[200:203], a[84:85], v[148:149], v[200:203]// 00000000DC50: D3F300C8 0F232954
	buffer_load_dwordx4 a[212:215], v49, s[12:15], 0 offen     // 00000000DC58: E05C1000 8083D431
	v_mfma_f32_16x16x32_fp8_fp8 v[200:203], a[86:87], v[150:151], v[200:203]// 00000000DC60: D3F300C8 0F232D56
	v_mfma_f32_16x16x32_fp8_fp8 v[204:207], a[84:85], v[180:181], v[204:207]// 00000000DC68: D3F300CC 0F336954
	v_mfma_f32_16x16x32_fp8_fp8 v[204:207], a[86:87], v[182:183], v[204:207]// 00000000DC70: D3F300CC 0F336D56
	v_mfma_f32_16x16x32_fp8_fp8 v[208:211], a[88:89], v[148:149], v[208:211]// 00000000DC78: D3F300D0 0F432958
	buffer_load_dwordx4 a[216:219], v50, s[12:15], 0 offen     // 00000000DC80: E05C1000 8083D832
	v_mfma_f32_16x16x32_fp8_fp8 v[208:211], a[90:91], v[150:151], v[208:211]// 00000000DC88: D3F300D0 0F432D5A
	v_mfma_f32_16x16x32_fp8_fp8 v[212:215], a[88:89], v[180:181], v[212:215]// 00000000DC90: D3F300D4 0F536958
	v_mfma_f32_16x16x32_fp8_fp8 v[212:215], a[90:91], v[182:183], v[212:215]// 00000000DC98: D3F300D4 0F536D5A
	v_mfma_f32_16x16x32_fp8_fp8 v[216:219], a[92:93], v[148:149], v[216:219]// 00000000DCA0: D3F300D8 0F63295C
	buffer_load_dwordx4 a[220:223], v51, s[12:15], 0 offen     // 00000000DCA8: E05C1000 8083DC33
	s_add_u32 s12, s78, s12                                    // 00000000DCB0: 800C0C4E
	s_addc_u32 s13, 0, s13                                     // 00000000DCB4: 820D0D80
	v_mfma_f32_16x16x32_fp8_fp8 v[216:219], a[94:95], v[150:151], v[216:219]// 00000000DCB8: D3F300D8 0F632D5E
	v_mfma_f32_16x16x32_fp8_fp8 v[220:223], a[92:93], v[180:181], v[220:223]// 00000000DCC0: D3F300DC 0F73695C
	v_mfma_f32_16x16x32_fp8_fp8 v[220:223], a[94:95], v[182:183], v[220:223]// 00000000DCC8: D3F300DC 0F736D5E
	s_waitcnt vmcnt(45)                                        // 00000000DCD0: BF8C8F7D
	v_mfma_f32_16x16x32_fp8_fp8 v[192:195], a[96:97], v[152:153], v[192:195]// 00000000DCD4: D3F300C0 0F033160
	buffer_load_dwordx4 a[224:227], v48, s[12:15], 0 offen     // 00000000DCDC: E05C1000 8083E030
	v_mfma_f32_16x16x32_fp8_fp8 v[192:195], a[98:99], v[154:155], v[192:195]// 00000000DCE4: D3F300C0 0F033562
	v_mfma_f32_16x16x32_fp8_fp8 v[196:199], a[96:97], v[184:185], v[196:199]// 00000000DCEC: D3F300C4 0F137160
	v_mfma_f32_16x16x32_fp8_fp8 v[196:199], a[98:99], v[186:187], v[196:199]// 00000000DCF4: D3F300C4 0F137562
	v_mfma_f32_16x16x32_fp8_fp8 v[200:203], a[100:101], v[152:153], v[200:203]// 00000000DCFC: D3F300C8 0F233164
	buffer_load_dwordx4 a[228:231], v49, s[12:15], 0 offen     // 00000000DD04: E05C1000 8083E431
	v_mfma_f32_16x16x32_fp8_fp8 v[200:203], a[102:103], v[154:155], v[200:203]// 00000000DD0C: D3F300C8 0F233566
	v_mfma_f32_16x16x32_fp8_fp8 v[204:207], a[100:101], v[184:185], v[204:207]// 00000000DD14: D3F300CC 0F337164
	v_mfma_f32_16x16x32_fp8_fp8 v[204:207], a[102:103], v[186:187], v[204:207]// 00000000DD1C: D3F300CC 0F337566
	v_mfma_f32_16x16x32_fp8_fp8 v[208:211], a[104:105], v[152:153], v[208:211]// 00000000DD24: D3F300D0 0F433168
	buffer_load_dwordx4 a[232:235], v50, s[12:15], 0 offen     // 00000000DD2C: E05C1000 8083E832
	v_mfma_f32_16x16x32_fp8_fp8 v[208:211], a[106:107], v[154:155], v[208:211]// 00000000DD34: D3F300D0 0F43356A
	v_mfma_f32_16x16x32_fp8_fp8 v[212:215], a[104:105], v[184:185], v[212:215]// 00000000DD3C: D3F300D4 0F537168
	v_mfma_f32_16x16x32_fp8_fp8 v[212:215], a[106:107], v[186:187], v[212:215]// 00000000DD44: D3F300D4 0F53756A
	v_mfma_f32_16x16x32_fp8_fp8 v[216:219], a[108:109], v[152:153], v[216:219]// 00000000DD4C: D3F300D8 0F63316C
	buffer_load_dwordx4 a[236:239], v51, s[12:15], 0 offen     // 00000000DD54: E05C1000 8083EC33
	s_add_u32 s12, s78, s12                                    // 00000000DD5C: 800C0C4E
	s_addc_u32 s13, 0, s13                                     // 00000000DD60: 820D0D80
	v_mfma_f32_16x16x32_fp8_fp8 v[216:219], a[110:111], v[154:155], v[216:219]// 00000000DD64: D3F300D8 0F63356E
	v_mfma_f32_16x16x32_fp8_fp8 v[220:223], a[108:109], v[184:185], v[220:223]// 00000000DD6C: D3F300DC 0F73716C
	v_mfma_f32_16x16x32_fp8_fp8 v[220:223], a[110:111], v[186:187], v[220:223]// 00000000DD74: D3F300DC 0F73756E
	s_waitcnt vmcnt(44)                                        // 00000000DD7C: BF8C8F7C
	v_mfma_f32_16x16x32_fp8_fp8 v[192:195], a[112:113], v[156:157], v[192:195]// 00000000DD80: D3F300C0 0F033970
	buffer_load_dwordx4 a[240:243], v48, s[12:15], 0 offen     // 00000000DD88: E05C1000 8083F030
	v_mfma_f32_16x16x32_fp8_fp8 v[192:195], a[114:115], v[158:159], v[192:195]// 00000000DD90: D3F300C0 0F033D72
	v_mfma_f32_16x16x32_fp8_fp8 v[196:199], a[112:113], v[188:189], v[196:199]// 00000000DD98: D3F300C4 0F137970
	buffer_load_dword v13, v5, s[16:19], 0 offen               // 00000000DDA0: E0501000 80040D05
	v_mfma_f32_16x16x32_fp8_fp8 v[196:199], a[114:115], v[190:191], v[196:199]// 00000000DDA8: D3F300C4 0F137D72
	v_mfma_f32_16x16x32_fp8_fp8 v[200:203], a[116:117], v[156:157], v[200:203]// 00000000DDB0: D3F300C8 0F233974
	buffer_load_dwordx4 a[244:247], v49, s[12:15], 0 offen     // 00000000DDB8: E05C1000 8083F431
	v_mfma_f32_16x16x32_fp8_fp8 v[200:203], a[118:119], v[158:159], v[200:203]// 00000000DDC0: D3F300C8 0F233D76
	v_mfma_f32_16x16x32_fp8_fp8 v[204:207], a[116:117], v[188:189], v[204:207]// 00000000DDC8: D3F300CC 0F337974
	v_mfma_f32_16x16x32_fp8_fp8 v[204:207], a[118:119], v[190:191], v[204:207]// 00000000DDD0: D3F300CC 0F337D76
	v_mfma_f32_16x16x32_fp8_fp8 v[208:211], a[120:121], v[156:157], v[208:211]// 00000000DDD8: D3F300D0 0F433978
	buffer_load_dwordx4 a[248:251], v50, s[12:15], 0 offen     // 00000000DDE0: E05C1000 8083F832
	v_mfma_f32_16x16x32_fp8_fp8 v[208:211], a[122:123], v[158:159], v[208:211]// 00000000DDE8: D3F300D0 0F433D7A
	v_mfma_f32_16x16x32_fp8_fp8 v[212:215], a[120:121], v[188:189], v[212:215]// 00000000DDF0: D3F300D4 0F537978
	v_mfma_f32_16x16x32_fp8_fp8 v[212:215], a[122:123], v[190:191], v[212:215]// 00000000DDF8: D3F300D4 0F537D7A
	v_mfma_f32_16x16x32_fp8_fp8 v[216:219], a[124:125], v[156:157], v[216:219]// 00000000DE00: D3F300D8 0F63397C
	buffer_load_dwordx4 a[252:255], v51, s[12:15], 0 offen     // 00000000DE08: E05C1000 8083FC33
	v_mfma_f32_16x16x32_fp8_fp8 v[216:219], a[126:127], v[158:159], v[216:219]// 00000000DE10: D3F300D8 0F633D7E
	v_mfma_f32_16x16x32_fp8_fp8 v[220:223], a[124:125], v[188:189], v[220:223]// 00000000DE18: D3F300DC 0F73797C
	v_mfma_f32_16x16x32_fp8_fp8 v[220:223], a[126:127], v[190:191], v[220:223]// 00000000DE20: D3F300DC 0F737D7E
	s_add_u32 s60, 0x200, s80                                  // 00000000DE28: 803C50FF 00000200
	s_cmp_lt_u32 s60, s81                                      // 00000000DE30: BF0A513C
	s_cselect_b32 s56, s56, 0                                  // 00000000DE34: 85388038
	s_cselect_b32 s78, s78, 0                                  // 00000000DE38: 854E804E
	s_cselect_b32 s79, s79, 0                                  // 00000000DE3C: 854F804F
	s_add_u32 s12, s56, s12                                    // 00000000DE40: 800C0C38
	s_addc_u32 s13, 0, s13                                     // 00000000DE44: 820D0D80
	s_add_u32 s16, s79, s16                                    // 00000000DE48: 8010104F
	s_addc_u32 s17, 0, s17                                     // 00000000DE4C: 82111180
	v_mov_b32_e32 v44, v24                                     // 00000000DE50: 7E580318
	v_mov_b32_e32 v46, v20                                     // 00000000DE54: 7E5C0314
	v_mov_b32_e32 v45, v44                                     // 00000000DE58: 7E5A032C
	v_mov_b32_e32 v47, v46                                     // 00000000DE5C: 7E5E032E
	v_pk_mul_f32 v[192:193], v[44:45], v[192:193]              // 00000000DE60: D3B140C0 1803812C
	v_pk_mul_f32 v[194:195], v[44:45], v[194:195]              // 00000000DE68: D3B140C2 1803852C
	v_mul_f32_dpp v192, v12, v192 row_newbcast:0 row_mask:0xf bank_mask:0xf// 00000000DE70: 0B8180FA FF01500C
	v_mul_f32_dpp v193, v12, v193 row_newbcast:1 row_mask:0xf bank_mask:0xf// 00000000DE78: 0B8382FA FF01510C
	v_mul_f32_dpp v194, v12, v194 row_newbcast:2 row_mask:0xf bank_mask:0xf// 00000000DE80: 0B8584FA FF01520C
	v_mul_f32_dpp v195, v12, v195 row_newbcast:3 row_mask:0xf bank_mask:0xf// 00000000DE88: 0B8786FA FF01530C
	v_pk_mul_f32 v[192:193], v[46:47], v[192:193]              // 00000000DE90: D3B140C0 1803812E
	v_pk_mul_f32 v[194:195], v[46:47], v[194:195]              // 00000000DE98: D3B140C2 1803852E
	v_pk_mul_f32 v[200:201], v[44:45], v[200:201]              // 00000000DEA0: D3B140C8 1803912C
	v_pk_mul_f32 v[202:203], v[44:45], v[202:203]              // 00000000DEA8: D3B140CA 1803952C
	v_mul_f32_dpp v200, v12, v200 row_newbcast:4 row_mask:0xf bank_mask:0xf// 00000000DEB0: 0B9190FA FF01540C
	v_mul_f32_dpp v201, v12, v201 row_newbcast:5 row_mask:0xf bank_mask:0xf// 00000000DEB8: 0B9392FA FF01550C
	v_mul_f32_dpp v202, v12, v202 row_newbcast:6 row_mask:0xf bank_mask:0xf// 00000000DEC0: 0B9594FA FF01560C
	v_mul_f32_dpp v203, v12, v203 row_newbcast:7 row_mask:0xf bank_mask:0xf// 00000000DEC8: 0B9796FA FF01570C
	v_pk_mul_f32 v[200:201], v[46:47], v[200:201]              // 00000000DED0: D3B140C8 1803912E
	v_pk_mul_f32 v[202:203], v[46:47], v[202:203]              // 00000000DED8: D3B140CA 1803952E
	v_pk_mul_f32 v[208:209], v[44:45], v[208:209]              // 00000000DEE0: D3B140D0 1803A12C
	v_pk_mul_f32 v[210:211], v[44:45], v[210:211]              // 00000000DEE8: D3B140D2 1803A52C
	v_mul_f32_dpp v208, v12, v208 row_newbcast:8 row_mask:0xf bank_mask:0xf// 00000000DEF0: 0BA1A0FA FF01580C
	v_mul_f32_dpp v209, v12, v209 row_newbcast:9 row_mask:0xf bank_mask:0xf// 00000000DEF8: 0BA3A2FA FF01590C
	v_mul_f32_dpp v210, v12, v210 row_newbcast:10 row_mask:0xf bank_mask:0xf// 00000000DF00: 0BA5A4FA FF015A0C
	v_mul_f32_dpp v211, v12, v211 row_newbcast:11 row_mask:0xf bank_mask:0xf// 00000000DF08: 0BA7A6FA FF015B0C
	v_pk_mul_f32 v[208:209], v[46:47], v[208:209]              // 00000000DF10: D3B140D0 1803A12E
	v_pk_mul_f32 v[210:211], v[46:47], v[210:211]              // 00000000DF18: D3B140D2 1803A52E
	v_pk_mul_f32 v[216:217], v[44:45], v[216:217]              // 00000000DF20: D3B140D8 1803B12C
	v_pk_mul_f32 v[218:219], v[44:45], v[218:219]              // 00000000DF28: D3B140DA 1803B52C
	v_mul_f32_dpp v216, v12, v216 row_newbcast:12 row_mask:0xf bank_mask:0xf// 00000000DF30: 0BB1B0FA FF015C0C
	v_mul_f32_dpp v217, v12, v217 row_newbcast:13 row_mask:0xf bank_mask:0xf// 00000000DF38: 0BB3B2FA FF015D0C
	v_mul_f32_dpp v218, v12, v218 row_newbcast:14 row_mask:0xf bank_mask:0xf// 00000000DF40: 0BB5B4FA FF015E0C
	v_mul_f32_dpp v219, v12, v219 row_newbcast:15 row_mask:0xf bank_mask:0xf// 00000000DF48: 0BB7B6FA FF015F0C
	v_pk_mul_f32 v[216:217], v[46:47], v[216:217]              // 00000000DF50: D3B140D8 1803B12E
	v_pk_mul_f32 v[218:219], v[46:47], v[218:219]              // 00000000DF58: D3B140DA 1803B52E
	v_mov_b32_e32 v44, v25                                     // 00000000DF60: 7E580319
	v_mov_b32_e32 v46, v21                                     // 00000000DF64: 7E5C0315
	v_mov_b32_e32 v45, v44                                     // 00000000DF68: 7E5A032C
	v_mov_b32_e32 v47, v46                                     // 00000000DF6C: 7E5E032E
	v_pk_mul_f32 v[196:197], v[44:45], v[196:197]              // 00000000DF70: D3B140C4 1803892C
	v_pk_mul_f32 v[198:199], v[44:45], v[198:199]              // 00000000DF78: D3B140C6 18038D2C
	v_mul_f32_dpp v196, v12, v196 row_newbcast:0 row_mask:0xf bank_mask:0xf// 00000000DF80: 0B8988FA FF01500C
	v_mul_f32_dpp v197, v12, v197 row_newbcast:1 row_mask:0xf bank_mask:0xf// 00000000DF88: 0B8B8AFA FF01510C
	v_mul_f32_dpp v198, v12, v198 row_newbcast:2 row_mask:0xf bank_mask:0xf// 00000000DF90: 0B8D8CFA FF01520C
	v_mul_f32_dpp v199, v12, v199 row_newbcast:3 row_mask:0xf bank_mask:0xf// 00000000DF98: 0B8F8EFA FF01530C
	v_pk_mul_f32 v[196:197], v[46:47], v[196:197]              // 00000000DFA0: D3B140C4 1803892E
	v_pk_mul_f32 v[198:199], v[46:47], v[198:199]              // 00000000DFA8: D3B140C6 18038D2E
	v_pk_mul_f32 v[204:205], v[44:45], v[204:205]              // 00000000DFB0: D3B140CC 1803992C
	v_pk_mul_f32 v[206:207], v[44:45], v[206:207]              // 00000000DFB8: D3B140CE 18039D2C
	v_mul_f32_dpp v204, v12, v204 row_newbcast:4 row_mask:0xf bank_mask:0xf// 00000000DFC0: 0B9998FA FF01540C
	v_mul_f32_dpp v205, v12, v205 row_newbcast:5 row_mask:0xf bank_mask:0xf// 00000000DFC8: 0B9B9AFA FF01550C
	v_mul_f32_dpp v206, v12, v206 row_newbcast:6 row_mask:0xf bank_mask:0xf// 00000000DFD0: 0B9D9CFA FF01560C
	v_mul_f32_dpp v207, v12, v207 row_newbcast:7 row_mask:0xf bank_mask:0xf// 00000000DFD8: 0B9F9EFA FF01570C
	v_pk_mul_f32 v[204:205], v[46:47], v[204:205]              // 00000000DFE0: D3B140CC 1803992E
	v_pk_mul_f32 v[206:207], v[46:47], v[206:207]              // 00000000DFE8: D3B140CE 18039D2E
	v_pk_mul_f32 v[212:213], v[44:45], v[212:213]              // 00000000DFF0: D3B140D4 1803A92C
	v_pk_mul_f32 v[214:215], v[44:45], v[214:215]              // 00000000DFF8: D3B140D6 1803AD2C
	v_mul_f32_dpp v212, v12, v212 row_newbcast:8 row_mask:0xf bank_mask:0xf// 00000000E000: 0BA9A8FA FF01580C
	v_mul_f32_dpp v213, v12, v213 row_newbcast:9 row_mask:0xf bank_mask:0xf// 00000000E008: 0BABAAFA FF01590C
	v_mul_f32_dpp v214, v12, v214 row_newbcast:10 row_mask:0xf bank_mask:0xf// 00000000E010: 0BADACFA FF015A0C
	v_mul_f32_dpp v215, v12, v215 row_newbcast:11 row_mask:0xf bank_mask:0xf// 00000000E018: 0BAFAEFA FF015B0C
	v_pk_mul_f32 v[212:213], v[46:47], v[212:213]              // 00000000E020: D3B140D4 1803A92E
	v_pk_mul_f32 v[214:215], v[46:47], v[214:215]              // 00000000E028: D3B140D6 1803AD2E
	v_pk_mul_f32 v[220:221], v[44:45], v[220:221]              // 00000000E030: D3B140DC 1803B92C
	v_pk_mul_f32 v[222:223], v[44:45], v[222:223]              // 00000000E038: D3B140DE 1803BD2C
	v_mul_f32_dpp v220, v12, v220 row_newbcast:12 row_mask:0xf bank_mask:0xf// 00000000E040: 0BB9B8FA FF015C0C
	v_mul_f32_dpp v221, v12, v221 row_newbcast:13 row_mask:0xf bank_mask:0xf// 00000000E048: 0BBBBAFA FF015D0C
	v_mul_f32_dpp v222, v12, v222 row_newbcast:14 row_mask:0xf bank_mask:0xf// 00000000E050: 0BBDBCFA FF015E0C
	v_mul_f32_dpp v223, v12, v223 row_newbcast:15 row_mask:0xf bank_mask:0xf// 00000000E058: 0BBFBEFA FF015F0C
	v_pk_mul_f32 v[220:221], v[46:47], v[220:221]              // 00000000E060: D3B140DC 1803B92E
	v_pk_mul_f32 v[222:223], v[46:47], v[222:223]              // 00000000E068: D3B140DE 1803BD2E
	v_cmp_u_f32_e64 s[48:49], v192, v192                       // 00000000E070: D0480030 000381C0
	v_add3_u32 v52, v192, v55, 1                               // 00000000E078: D1FF0034 02066FC0
	v_cndmask_b32_e64 v44, v52, v54, s[48:49]                  // 00000000E080: D100002C 00C26D34
	v_cmp_u_f32_e64 s[48:49], v193, v193                       // 00000000E088: D0480030 000383C1
	v_add3_u32 v52, v193, v55, 1                               // 00000000E090: D1FF0034 02066FC1
	v_cndmask_b32_e64 v45, v52, v54, s[48:49]                  // 00000000E098: D100002D 00C26D34
	v_perm_b32 v192, v45, v44, s52                             // 00000000E0A0: D1ED00C0 00D2592D
	v_cmp_u_f32_e64 s[48:49], v194, v194                       // 00000000E0A8: D0480030 000385C2
	v_add3_u32 v52, v194, v55, 1                               // 00000000E0B0: D1FF0034 02066FC2
	v_cndmask_b32_e64 v44, v52, v54, s[48:49]                  // 00000000E0B8: D100002C 00C26D34
	v_cmp_u_f32_e64 s[48:49], v195, v195                       // 00000000E0C0: D0480030 000387C3
	v_add3_u32 v52, v195, v55, 1                               // 00000000E0C8: D1FF0034 02066FC3
	v_cndmask_b32_e64 v45, v52, v54, s[48:49]                  // 00000000E0D0: D100002D 00C26D34
	v_perm_b32 v193, v45, v44, s52                             // 00000000E0D8: D1ED00C1 00D2592D
	v_cmp_u_f32_e64 s[48:49], v196, v196                       // 00000000E0E0: D0480030 000389C4
	v_add3_u32 v52, v196, v55, 1                               // 00000000E0E8: D1FF0034 02066FC4
	v_cndmask_b32_e64 v44, v52, v54, s[48:49]                  // 00000000E0F0: D100002C 00C26D34
	v_cmp_u_f32_e64 s[48:49], v197, v197                       // 00000000E0F8: D0480030 00038BC5
	v_add3_u32 v52, v197, v55, 1                               // 00000000E100: D1FF0034 02066FC5
	v_cndmask_b32_e64 v45, v52, v54, s[48:49]                  // 00000000E108: D100002D 00C26D34
	v_perm_b32 v194, v45, v44, s52                             // 00000000E110: D1ED00C2 00D2592D
	v_cmp_u_f32_e64 s[48:49], v198, v198                       // 00000000E118: D0480030 00038DC6
	v_add3_u32 v52, v198, v55, 1                               // 00000000E120: D1FF0034 02066FC6
	v_cndmask_b32_e64 v44, v52, v54, s[48:49]                  // 00000000E128: D100002C 00C26D34
	v_cmp_u_f32_e64 s[48:49], v199, v199                       // 00000000E130: D0480030 00038FC7
	v_add3_u32 v52, v199, v55, 1                               // 00000000E138: D1FF0034 02066FC7
	v_cndmask_b32_e64 v45, v52, v54, s[48:49]                  // 00000000E140: D100002D 00C26D34
	v_perm_b32 v195, v45, v44, s52                             // 00000000E148: D1ED00C3 00D2592D
	v_cmp_u_f32_e64 s[48:49], v200, v200                       // 00000000E150: D0480030 000391C8
	v_add3_u32 v52, v200, v55, 1                               // 00000000E158: D1FF0034 02066FC8
	v_cndmask_b32_e64 v44, v52, v54, s[48:49]                  // 00000000E160: D100002C 00C26D34
	v_cmp_u_f32_e64 s[48:49], v201, v201                       // 00000000E168: D0480030 000393C9
	v_add3_u32 v52, v201, v55, 1                               // 00000000E170: D1FF0034 02066FC9
	v_cndmask_b32_e64 v45, v52, v54, s[48:49]                  // 00000000E178: D100002D 00C26D34
	v_perm_b32 v196, v45, v44, s52                             // 00000000E180: D1ED00C4 00D2592D
	v_cmp_u_f32_e64 s[48:49], v202, v202                       // 00000000E188: D0480030 000395CA
	v_add3_u32 v52, v202, v55, 1                               // 00000000E190: D1FF0034 02066FCA
	v_cndmask_b32_e64 v44, v52, v54, s[48:49]                  // 00000000E198: D100002C 00C26D34
	v_cmp_u_f32_e64 s[48:49], v203, v203                       // 00000000E1A0: D0480030 000397CB
	v_add3_u32 v52, v203, v55, 1                               // 00000000E1A8: D1FF0034 02066FCB
	v_cndmask_b32_e64 v45, v52, v54, s[48:49]                  // 00000000E1B0: D100002D 00C26D34
	v_perm_b32 v197, v45, v44, s52                             // 00000000E1B8: D1ED00C5 00D2592D
	v_cmp_u_f32_e64 s[48:49], v204, v204                       // 00000000E1C0: D0480030 000399CC
	v_add3_u32 v52, v204, v55, 1                               // 00000000E1C8: D1FF0034 02066FCC
	v_cndmask_b32_e64 v44, v52, v54, s[48:49]                  // 00000000E1D0: D100002C 00C26D34
	v_cmp_u_f32_e64 s[48:49], v205, v205                       // 00000000E1D8: D0480030 00039BCD
	v_add3_u32 v52, v205, v55, 1                               // 00000000E1E0: D1FF0034 02066FCD
	v_cndmask_b32_e64 v45, v52, v54, s[48:49]                  // 00000000E1E8: D100002D 00C26D34
	v_perm_b32 v198, v45, v44, s52                             // 00000000E1F0: D1ED00C6 00D2592D
	v_cmp_u_f32_e64 s[48:49], v206, v206                       // 00000000E1F8: D0480030 00039DCE
	v_add3_u32 v52, v206, v55, 1                               // 00000000E200: D1FF0034 02066FCE
	v_cndmask_b32_e64 v44, v52, v54, s[48:49]                  // 00000000E208: D100002C 00C26D34
	v_cmp_u_f32_e64 s[48:49], v207, v207                       // 00000000E210: D0480030 00039FCF
	v_add3_u32 v52, v207, v55, 1                               // 00000000E218: D1FF0034 02066FCF
	v_cndmask_b32_e64 v45, v52, v54, s[48:49]                  // 00000000E220: D100002D 00C26D34
	v_perm_b32 v199, v45, v44, s52                             // 00000000E228: D1ED00C7 00D2592D
	v_cmp_u_f32_e64 s[48:49], v208, v208                       // 00000000E230: D0480030 0003A1D0
	v_add3_u32 v52, v208, v55, 1                               // 00000000E238: D1FF0034 02066FD0
	v_cndmask_b32_e64 v44, v52, v54, s[48:49]                  // 00000000E240: D100002C 00C26D34
	v_cmp_u_f32_e64 s[48:49], v209, v209                       // 00000000E248: D0480030 0003A3D1
	v_add3_u32 v52, v209, v55, 1                               // 00000000E250: D1FF0034 02066FD1
	v_cndmask_b32_e64 v45, v52, v54, s[48:49]                  // 00000000E258: D100002D 00C26D34
	v_perm_b32 v200, v45, v44, s52                             // 00000000E260: D1ED00C8 00D2592D
	v_cmp_u_f32_e64 s[48:49], v210, v210                       // 00000000E268: D0480030 0003A5D2
	v_add3_u32 v52, v210, v55, 1                               // 00000000E270: D1FF0034 02066FD2
	v_cndmask_b32_e64 v44, v52, v54, s[48:49]                  // 00000000E278: D100002C 00C26D34
	v_cmp_u_f32_e64 s[48:49], v211, v211                       // 00000000E280: D0480030 0003A7D3
	v_add3_u32 v52, v211, v55, 1                               // 00000000E288: D1FF0034 02066FD3
	v_cndmask_b32_e64 v45, v52, v54, s[48:49]                  // 00000000E290: D100002D 00C26D34
	v_perm_b32 v201, v45, v44, s52                             // 00000000E298: D1ED00C9 00D2592D
	v_cmp_u_f32_e64 s[48:49], v212, v212                       // 00000000E2A0: D0480030 0003A9D4
	v_add3_u32 v52, v212, v55, 1                               // 00000000E2A8: D1FF0034 02066FD4
	v_cndmask_b32_e64 v44, v52, v54, s[48:49]                  // 00000000E2B0: D100002C 00C26D34
	v_cmp_u_f32_e64 s[48:49], v213, v213                       // 00000000E2B8: D0480030 0003ABD5
	v_add3_u32 v52, v213, v55, 1                               // 00000000E2C0: D1FF0034 02066FD5
	v_cndmask_b32_e64 v45, v52, v54, s[48:49]                  // 00000000E2C8: D100002D 00C26D34
	v_perm_b32 v202, v45, v44, s52                             // 00000000E2D0: D1ED00CA 00D2592D
	v_cmp_u_f32_e64 s[48:49], v214, v214                       // 00000000E2D8: D0480030 0003ADD6
	v_add3_u32 v52, v214, v55, 1                               // 00000000E2E0: D1FF0034 02066FD6
	v_cndmask_b32_e64 v44, v52, v54, s[48:49]                  // 00000000E2E8: D100002C 00C26D34
	v_cmp_u_f32_e64 s[48:49], v215, v215                       // 00000000E2F0: D0480030 0003AFD7
	v_add3_u32 v52, v215, v55, 1                               // 00000000E2F8: D1FF0034 02066FD7
	v_cndmask_b32_e64 v45, v52, v54, s[48:49]                  // 00000000E300: D100002D 00C26D34
	v_perm_b32 v203, v45, v44, s52                             // 00000000E308: D1ED00CB 00D2592D
	v_cmp_u_f32_e64 s[48:49], v216, v216                       // 00000000E310: D0480030 0003B1D8
	v_add3_u32 v52, v216, v55, 1                               // 00000000E318: D1FF0034 02066FD8
	v_cndmask_b32_e64 v44, v52, v54, s[48:49]                  // 00000000E320: D100002C 00C26D34
	v_cmp_u_f32_e64 s[48:49], v217, v217                       // 00000000E328: D0480030 0003B3D9
	v_add3_u32 v52, v217, v55, 1                               // 00000000E330: D1FF0034 02066FD9
	v_cndmask_b32_e64 v45, v52, v54, s[48:49]                  // 00000000E338: D100002D 00C26D34
	v_perm_b32 v204, v45, v44, s52                             // 00000000E340: D1ED00CC 00D2592D
	v_cmp_u_f32_e64 s[48:49], v218, v218                       // 00000000E348: D0480030 0003B5DA
	v_add3_u32 v52, v218, v55, 1                               // 00000000E350: D1FF0034 02066FDA
	v_cndmask_b32_e64 v44, v52, v54, s[48:49]                  // 00000000E358: D100002C 00C26D34
	v_cmp_u_f32_e64 s[48:49], v219, v219                       // 00000000E360: D0480030 0003B7DB
	v_add3_u32 v52, v219, v55, 1                               // 00000000E368: D1FF0034 02066FDB
	v_cndmask_b32_e64 v45, v52, v54, s[48:49]                  // 00000000E370: D100002D 00C26D34
	v_perm_b32 v205, v45, v44, s52                             // 00000000E378: D1ED00CD 00D2592D
	v_cmp_u_f32_e64 s[48:49], v220, v220                       // 00000000E380: D0480030 0003B9DC
	v_add3_u32 v52, v220, v55, 1                               // 00000000E388: D1FF0034 02066FDC
	v_cndmask_b32_e64 v44, v52, v54, s[48:49]                  // 00000000E390: D100002C 00C26D34
	v_cmp_u_f32_e64 s[48:49], v221, v221                       // 00000000E398: D0480030 0003BBDD
	v_add3_u32 v52, v221, v55, 1                               // 00000000E3A0: D1FF0034 02066FDD
	v_cndmask_b32_e64 v45, v52, v54, s[48:49]                  // 00000000E3A8: D100002D 00C26D34
	v_perm_b32 v206, v45, v44, s52                             // 00000000E3B0: D1ED00CE 00D2592D
	v_cmp_u_f32_e64 s[48:49], v222, v222                       // 00000000E3B8: D0480030 0003BDDE
	v_add3_u32 v52, v222, v55, 1                               // 00000000E3C0: D1FF0034 02066FDE
	v_cndmask_b32_e64 v44, v52, v54, s[48:49]                  // 00000000E3C8: D100002C 00C26D34
	v_cmp_u_f32_e64 s[48:49], v223, v223                       // 00000000E3D0: D0480030 0003BFDF
	v_add3_u32 v52, v223, v55, 1                               // 00000000E3D8: D1FF0034 02066FDF
	v_cndmask_b32_e64 v45, v52, v54, s[48:49]                  // 00000000E3E0: D100002D 00C26D34
	v_perm_b32 v207, v45, v44, s52                             // 00000000E3E8: D1ED00CF 00D2592D
	ds_write_b64 v3, v[192:193] offset:2048                    // 00000000E3F0: D89A0800 0000C003
	ds_write_b64 v3, v[194:195] offset:10752                   // 00000000E3F8: D89A2A00 0000C203
	ds_write_b64 v3, v[196:197] offset:4224                    // 00000000E400: D89A1080 0000C403
	ds_write_b64 v3, v[198:199] offset:12928                   // 00000000E408: D89A3280 0000C603
	ds_write_b64 v3, v[200:201] offset:6400                    // 00000000E410: D89A1900 0000C803
	ds_write_b64 v3, v[202:203] offset:15104                   // 00000000E418: D89A3B00 0000CA03
	ds_write_b64 v3, v[204:205] offset:8576                    // 00000000E420: D89A2180 0000CC03
	ds_write_b64 v3, v[206:207] offset:17280                   // 00000000E428: D89A4380 0000CE03
	s_waitcnt lgkmcnt(0)                                       // 00000000E430: BF8CC07F
	s_barrier                                                  // 00000000E434: BF8A0000
	ds_read_b32 v64, v4 offset:2048                            // 00000000E438: D86C0800 40000004
	ds_read_b32 v65, v4 offset:6400                            // 00000000E440: D86C1900 41000004
	ds_read_b32 v66, v4 offset:2080                            // 00000000E448: D86C0820 42000004
	ds_read_b32 v67, v4 offset:6432                            // 00000000E450: D86C1920 43000004
	ds_read_b32 v68, v4 offset:2112                            // 00000000E458: D86C0840 44000004
	ds_read_b32 v69, v4 offset:6464                            // 00000000E460: D86C1940 45000004
	ds_read_b32 v70, v4 offset:2144                            // 00000000E468: D86C0860 46000004
	ds_read_b32 v71, v4 offset:6496                            // 00000000E470: D86C1960 47000004
	ds_read_b32 v72, v4 offset:10752                           // 00000000E478: D86C2A00 48000004
	ds_read_b32 v73, v4 offset:15104                           // 00000000E480: D86C3B00 49000004
	ds_read_b32 v74, v4 offset:10784                           // 00000000E488: D86C2A20 4A000004
	ds_read_b32 v75, v4 offset:15136                           // 00000000E490: D86C3B20 4B000004
	ds_read_b32 v76, v4 offset:10816                           // 00000000E498: D86C2A40 4C000004
	ds_read_b32 v77, v4 offset:15168                           // 00000000E4A0: D86C3B40 4D000004
	ds_read_b32 v78, v4 offset:10848                           // 00000000E4A8: D86C2A60 4E000004
	ds_read_b32 v79, v4 offset:15200                           // 00000000E4B0: D86C3B60 4F000004
	s_waitcnt lgkmcnt(0)                                       // 00000000E4B8: BF8CC07F
	s_mov_b64 exec, s[20:21]                                   // 00000000E4BC: BEFE0114
	global_atomic_pk_add_bf16 v80, v64, s[8:9]                 // 00000000E4C0: DD488000 00084050
	s_mov_b64 exec, s[36:37]                                   // 00000000E4C8: BEFE0124
	s_mov_b64 exec, s[20:21]                                   // 00000000E4CC: BEFE0114
	global_atomic_pk_add_bf16 v80, v65, s[8:9] offset:256      // 00000000E4D0: DD488100 00084150
	s_mov_b64 exec, s[36:37]                                   // 00000000E4D8: BEFE0124
	s_mov_b64 exec, s[22:23]                                   // 00000000E4DC: BEFE0116
	global_atomic_pk_add_bf16 v82, v66, s[8:9]                 // 00000000E4E0: DD488000 00084252
	s_mov_b64 exec, s[36:37]                                   // 00000000E4E8: BEFE0124
	s_mov_b64 exec, s[22:23]                                   // 00000000E4EC: BEFE0116
	global_atomic_pk_add_bf16 v82, v67, s[8:9] offset:256      // 00000000E4F0: DD488100 00084352
	s_mov_b64 exec, s[36:37]                                   // 00000000E4F8: BEFE0124
	s_mov_b64 exec, s[24:25]                                   // 00000000E4FC: BEFE0118
	global_atomic_pk_add_bf16 v84, v68, s[8:9]                 // 00000000E500: DD488000 00084454
	s_mov_b64 exec, s[36:37]                                   // 00000000E508: BEFE0124
	s_mov_b64 exec, s[24:25]                                   // 00000000E50C: BEFE0118
	global_atomic_pk_add_bf16 v84, v69, s[8:9] offset:256      // 00000000E510: DD488100 00084554
	s_mov_b64 exec, s[36:37]                                   // 00000000E518: BEFE0124
	s_mov_b64 exec, s[26:27]                                   // 00000000E51C: BEFE011A
	global_atomic_pk_add_bf16 v86, v70, s[8:9]                 // 00000000E520: DD488000 00084656
	s_mov_b64 exec, s[36:37]                                   // 00000000E528: BEFE0124
	s_mov_b64 exec, s[26:27]                                   // 00000000E52C: BEFE011A
	global_atomic_pk_add_bf16 v86, v71, s[8:9] offset:256      // 00000000E530: DD488100 00084756
	s_mov_b64 exec, s[36:37]                                   // 00000000E538: BEFE0124
	s_mov_b64 exec, s[28:29]                                   // 00000000E53C: BEFE011C
	global_atomic_pk_add_bf16 v88, v72, s[8:9]                 // 00000000E540: DD488000 00084858
	s_mov_b64 exec, s[36:37]                                   // 00000000E548: BEFE0124
	s_mov_b64 exec, s[28:29]                                   // 00000000E54C: BEFE011C
	global_atomic_pk_add_bf16 v88, v73, s[8:9] offset:256      // 00000000E550: DD488100 00084958
	s_mov_b64 exec, s[36:37]                                   // 00000000E558: BEFE0124
	s_mov_b64 exec, s[30:31]                                   // 00000000E55C: BEFE011E
	global_atomic_pk_add_bf16 v90, v74, s[8:9]                 // 00000000E560: DD488000 00084A5A
	s_mov_b64 exec, s[36:37]                                   // 00000000E568: BEFE0124
	s_mov_b64 exec, s[30:31]                                   // 00000000E56C: BEFE011E
	global_atomic_pk_add_bf16 v90, v75, s[8:9] offset:256      // 00000000E570: DD488100 00084B5A
	s_mov_b64 exec, s[36:37]                                   // 00000000E578: BEFE0124
	s_mov_b64 exec, s[32:33]                                   // 00000000E57C: BEFE0120
	global_atomic_pk_add_bf16 v92, v76, s[8:9]                 // 00000000E580: DD488000 00084C5C
	s_mov_b64 exec, s[36:37]                                   // 00000000E588: BEFE0124
	s_mov_b64 exec, s[32:33]                                   // 00000000E58C: BEFE0120
	global_atomic_pk_add_bf16 v92, v77, s[8:9] offset:256      // 00000000E590: DD488100 00084D5C
	s_mov_b64 exec, s[36:37]                                   // 00000000E598: BEFE0124
	s_mov_b64 exec, s[34:35]                                   // 00000000E59C: BEFE0122
	global_atomic_pk_add_bf16 v94, v78, s[8:9]                 // 00000000E5A0: DD488000 00084E5E
	s_mov_b64 exec, s[36:37]                                   // 00000000E5A8: BEFE0124
	s_mov_b64 exec, s[34:35]                                   // 00000000E5AC: BEFE0122
	global_atomic_pk_add_bf16 v94, v79, s[8:9] offset:256      // 00000000E5B0: DD488100 00084F5E
	s_mov_b64 exec, s[36:37]                                   // 00000000E5B8: BEFE0124
	s_add_u32 s8, s59, s8                                      // 00000000E5BC: 8008083B
	s_addc_u32 s9, 0, s9                                       // 00000000E5C0: 82090980
	s_addk_i32 s80, 0x100                                      // 00000000E5C4: B7500100
	s_cmp_lt_i32 s80, s81                                      // 00000000E5C8: BF045150
	s_cbranch_scc0 label_1B05                                  // 00000000E5CC: BF84EC51
	s_waitcnt vmcnt(45)                                        // 00000000E5D0: BF8C8F7D
	s_barrier                                                  // 00000000E5D4: BF8A0000
	v_mfma_f32_16x16x32_fp8_fp8 v[224:227], a[128:129], v[128:129], 0// 00000000E5D8: D3F300E0 0A030180
	buffer_load_dwordx4 a[0:3], v48, s[12:15], 0 offen         // 00000000E5E0: E05C1000 80830030
	v_mfma_f32_16x16x32_fp8_fp8 v[224:227], a[130:131], v[130:131], v[224:227]// 00000000E5E8: D3F300E0 0F830582
	v_mfma_f32_16x16x32_fp8_fp8 v[228:231], a[128:129], v[160:161], 0// 00000000E5F0: D3F300E4 0A034180
	v_mfma_f32_16x16x32_fp8_fp8 v[228:231], a[130:131], v[162:163], v[228:231]// 00000000E5F8: D3F300E4 0F934582
	v_mfma_f32_16x16x32_fp8_fp8 v[232:235], a[132:133], v[128:129], 0// 00000000E600: D3F300E8 0A030184
	buffer_load_dwordx4 a[4:7], v49, s[12:15], 0 offen         // 00000000E608: E05C1000 80830431
	v_mfma_f32_16x16x32_fp8_fp8 v[232:235], a[134:135], v[130:131], v[232:235]// 00000000E610: D3F300E8 0FA30586
	v_mfma_f32_16x16x32_fp8_fp8 v[236:239], a[132:133], v[160:161], 0// 00000000E618: D3F300EC 0A034184
	v_mfma_f32_16x16x32_fp8_fp8 v[236:239], a[134:135], v[162:163], v[236:239]// 00000000E620: D3F300EC 0FB34586
	v_mfma_f32_16x16x32_fp8_fp8 v[240:243], a[136:137], v[128:129], 0// 00000000E628: D3F300F0 0A030188
	buffer_load_dwordx4 a[8:11], v50, s[12:15], 0 offen        // 00000000E630: E05C1000 80830832
	v_mfma_f32_16x16x32_fp8_fp8 v[240:243], a[138:139], v[130:131], v[240:243]// 00000000E638: D3F300F0 0FC3058A
	v_mfma_f32_16x16x32_fp8_fp8 v[244:247], a[136:137], v[160:161], 0// 00000000E640: D3F300F4 0A034188
	v_mfma_f32_16x16x32_fp8_fp8 v[244:247], a[138:139], v[162:163], v[244:247]// 00000000E648: D3F300F4 0FD3458A
	v_mfma_f32_16x16x32_fp8_fp8 v[248:251], a[140:141], v[128:129], 0// 00000000E650: D3F300F8 0A03018C
	buffer_load_dwordx4 a[12:15], v51, s[12:15], 0 offen       // 00000000E658: E05C1000 80830C33
	s_add_u32 s12, s78, s12                                    // 00000000E660: 800C0C4E
	s_addc_u32 s13, 0, s13                                     // 00000000E664: 820D0D80
	v_mfma_f32_16x16x32_fp8_fp8 v[248:251], a[142:143], v[130:131], v[248:251]// 00000000E668: D3F300F8 0FE3058E
	v_mfma_f32_16x16x32_fp8_fp8 v[252:255], a[140:141], v[160:161], 0// 00000000E670: D3F300FC 0A03418C
	v_mfma_f32_16x16x32_fp8_fp8 v[252:255], a[142:143], v[162:163], v[252:255]// 00000000E678: D3F300FC 0FF3458E
	s_waitcnt vmcnt(45)                                        // 00000000E680: BF8C8F7D
	v_mfma_f32_16x16x32_fp8_fp8 v[224:227], a[144:145], v[132:133], v[224:227]// 00000000E684: D3F300E0 0F830990
	buffer_load_dwordx4 a[16:19], v48, s[12:15], 0 offen       // 00000000E68C: E05C1000 80831030
	v_mfma_f32_16x16x32_fp8_fp8 v[224:227], a[146:147], v[134:135], v[224:227]// 00000000E694: D3F300E0 0F830D92
	v_mfma_f32_16x16x32_fp8_fp8 v[228:231], a[144:145], v[164:165], v[228:231]// 00000000E69C: D3F300E4 0F934990
	v_mfma_f32_16x16x32_fp8_fp8 v[228:231], a[146:147], v[166:167], v[228:231]// 00000000E6A4: D3F300E4 0F934D92
	v_mfma_f32_16x16x32_fp8_fp8 v[232:235], a[148:149], v[132:133], v[232:235]// 00000000E6AC: D3F300E8 0FA30994
	buffer_load_dwordx4 a[20:23], v49, s[12:15], 0 offen       // 00000000E6B4: E05C1000 80831431
	v_mfma_f32_16x16x32_fp8_fp8 v[232:235], a[150:151], v[134:135], v[232:235]// 00000000E6BC: D3F300E8 0FA30D96
	v_mfma_f32_16x16x32_fp8_fp8 v[236:239], a[148:149], v[164:165], v[236:239]// 00000000E6C4: D3F300EC 0FB34994
	v_mfma_f32_16x16x32_fp8_fp8 v[236:239], a[150:151], v[166:167], v[236:239]// 00000000E6CC: D3F300EC 0FB34D96
	v_mfma_f32_16x16x32_fp8_fp8 v[240:243], a[152:153], v[132:133], v[240:243]// 00000000E6D4: D3F300F0 0FC30998
	buffer_load_dwordx4 a[24:27], v50, s[12:15], 0 offen       // 00000000E6DC: E05C1000 80831832
	v_mfma_f32_16x16x32_fp8_fp8 v[240:243], a[154:155], v[134:135], v[240:243]// 00000000E6E4: D3F300F0 0FC30D9A
	v_mfma_f32_16x16x32_fp8_fp8 v[244:247], a[152:153], v[164:165], v[244:247]// 00000000E6EC: D3F300F4 0FD34998
	v_mfma_f32_16x16x32_fp8_fp8 v[244:247], a[154:155], v[166:167], v[244:247]// 00000000E6F4: D3F300F4 0FD34D9A
	v_mfma_f32_16x16x32_fp8_fp8 v[248:251], a[156:157], v[132:133], v[248:251]// 00000000E6FC: D3F300F8 0FE3099C
	buffer_load_dwordx4 a[28:31], v51, s[12:15], 0 offen       // 00000000E704: E05C1000 80831C33
	s_add_u32 s12, s78, s12                                    // 00000000E70C: 800C0C4E
	s_addc_u32 s13, 0, s13                                     // 00000000E710: 820D0D80
	v_mfma_f32_16x16x32_fp8_fp8 v[248:251], a[158:159], v[134:135], v[248:251]// 00000000E714: D3F300F8 0FE30D9E
	v_mfma_f32_16x16x32_fp8_fp8 v[252:255], a[156:157], v[164:165], v[252:255]// 00000000E71C: D3F300FC 0FF3499C
	v_mfma_f32_16x16x32_fp8_fp8 v[252:255], a[158:159], v[166:167], v[252:255]// 00000000E724: D3F300FC 0FF34D9E
	s_waitcnt vmcnt(45)                                        // 00000000E72C: BF8C8F7D
	v_mfma_f32_16x16x32_fp8_fp8 v[224:227], a[160:161], v[136:137], v[224:227]// 00000000E730: D3F300E0 0F8311A0
	buffer_load_dwordx4 a[32:35], v48, s[12:15], 0 offen       // 00000000E738: E05C1000 80832030
	v_mfma_f32_16x16x32_fp8_fp8 v[224:227], a[162:163], v[138:139], v[224:227]// 00000000E740: D3F300E0 0F8315A2
	v_mfma_f32_16x16x32_fp8_fp8 v[228:231], a[160:161], v[168:169], v[228:231]// 00000000E748: D3F300E4 0F9351A0
	v_mfma_f32_16x16x32_fp8_fp8 v[228:231], a[162:163], v[170:171], v[228:231]// 00000000E750: D3F300E4 0F9355A2
	v_mfma_f32_16x16x32_fp8_fp8 v[232:235], a[164:165], v[136:137], v[232:235]// 00000000E758: D3F300E8 0FA311A4
	buffer_load_dwordx4 a[36:39], v49, s[12:15], 0 offen       // 00000000E760: E05C1000 80832431
	v_mfma_f32_16x16x32_fp8_fp8 v[232:235], a[166:167], v[138:139], v[232:235]// 00000000E768: D3F300E8 0FA315A6
	v_mfma_f32_16x16x32_fp8_fp8 v[236:239], a[164:165], v[168:169], v[236:239]// 00000000E770: D3F300EC 0FB351A4
	v_mfma_f32_16x16x32_fp8_fp8 v[236:239], a[166:167], v[170:171], v[236:239]// 00000000E778: D3F300EC 0FB355A6
	v_mfma_f32_16x16x32_fp8_fp8 v[240:243], a[168:169], v[136:137], v[240:243]// 00000000E780: D3F300F0 0FC311A8
	buffer_load_dwordx4 a[40:43], v50, s[12:15], 0 offen       // 00000000E788: E05C1000 80832832
	v_mfma_f32_16x16x32_fp8_fp8 v[240:243], a[170:171], v[138:139], v[240:243]// 00000000E790: D3F300F0 0FC315AA
	v_mfma_f32_16x16x32_fp8_fp8 v[244:247], a[168:169], v[168:169], v[244:247]// 00000000E798: D3F300F4 0FD351A8
	v_mfma_f32_16x16x32_fp8_fp8 v[244:247], a[170:171], v[170:171], v[244:247]// 00000000E7A0: D3F300F4 0FD355AA
	v_mfma_f32_16x16x32_fp8_fp8 v[248:251], a[172:173], v[136:137], v[248:251]// 00000000E7A8: D3F300F8 0FE311AC
	buffer_load_dwordx4 a[44:47], v51, s[12:15], 0 offen       // 00000000E7B0: E05C1000 80832C33
	s_add_u32 s12, s78, s12                                    // 00000000E7B8: 800C0C4E
	s_addc_u32 s13, 0, s13                                     // 00000000E7BC: 820D0D80
	v_mfma_f32_16x16x32_fp8_fp8 v[248:251], a[174:175], v[138:139], v[248:251]// 00000000E7C0: D3F300F8 0FE315AE
	v_mfma_f32_16x16x32_fp8_fp8 v[252:255], a[172:173], v[168:169], v[252:255]// 00000000E7C8: D3F300FC 0FF351AC
	v_mfma_f32_16x16x32_fp8_fp8 v[252:255], a[174:175], v[170:171], v[252:255]// 00000000E7D0: D3F300FC 0FF355AE
	s_waitcnt vmcnt(45)                                        // 00000000E7D8: BF8C8F7D
	v_mfma_f32_16x16x32_fp8_fp8 v[224:227], a[176:177], v[140:141], v[224:227]// 00000000E7DC: D3F300E0 0F8319B0
	buffer_load_dwordx4 a[48:51], v48, s[12:15], 0 offen       // 00000000E7E4: E05C1000 80833030
	v_mfma_f32_16x16x32_fp8_fp8 v[224:227], a[178:179], v[142:143], v[224:227]// 00000000E7EC: D3F300E0 0F831DB2
	v_mfma_f32_16x16x32_fp8_fp8 v[228:231], a[176:177], v[172:173], v[228:231]// 00000000E7F4: D3F300E4 0F9359B0
	v_mfma_f32_16x16x32_fp8_fp8 v[228:231], a[178:179], v[174:175], v[228:231]// 00000000E7FC: D3F300E4 0F935DB2
	v_mfma_f32_16x16x32_fp8_fp8 v[232:235], a[180:181], v[140:141], v[232:235]// 00000000E804: D3F300E8 0FA319B4
	buffer_load_dwordx4 a[52:55], v49, s[12:15], 0 offen       // 00000000E80C: E05C1000 80833431
	v_mfma_f32_16x16x32_fp8_fp8 v[232:235], a[182:183], v[142:143], v[232:235]// 00000000E814: D3F300E8 0FA31DB6
	v_mfma_f32_16x16x32_fp8_fp8 v[236:239], a[180:181], v[172:173], v[236:239]// 00000000E81C: D3F300EC 0FB359B4
	v_mfma_f32_16x16x32_fp8_fp8 v[236:239], a[182:183], v[174:175], v[236:239]// 00000000E824: D3F300EC 0FB35DB6
	v_mfma_f32_16x16x32_fp8_fp8 v[240:243], a[184:185], v[140:141], v[240:243]// 00000000E82C: D3F300F0 0FC319B8
	buffer_load_dwordx4 a[56:59], v50, s[12:15], 0 offen       // 00000000E834: E05C1000 80833832
	v_mfma_f32_16x16x32_fp8_fp8 v[240:243], a[186:187], v[142:143], v[240:243]// 00000000E83C: D3F300F0 0FC31DBA
	v_mfma_f32_16x16x32_fp8_fp8 v[244:247], a[184:185], v[172:173], v[244:247]// 00000000E844: D3F300F4 0FD359B8
	v_mfma_f32_16x16x32_fp8_fp8 v[244:247], a[186:187], v[174:175], v[244:247]// 00000000E84C: D3F300F4 0FD35DBA
	v_mfma_f32_16x16x32_fp8_fp8 v[248:251], a[188:189], v[140:141], v[248:251]// 00000000E854: D3F300F8 0FE319BC
	buffer_load_dwordx4 a[60:63], v51, s[12:15], 0 offen       // 00000000E85C: E05C1000 80833C33
	s_add_u32 s12, s78, s12                                    // 00000000E864: 800C0C4E
	s_addc_u32 s13, 0, s13                                     // 00000000E868: 820D0D80
	v_mfma_f32_16x16x32_fp8_fp8 v[248:251], a[190:191], v[142:143], v[248:251]// 00000000E86C: D3F300F8 0FE31DBE
	v_mfma_f32_16x16x32_fp8_fp8 v[252:255], a[188:189], v[172:173], v[252:255]// 00000000E874: D3F300FC 0FF359BC
	v_mfma_f32_16x16x32_fp8_fp8 v[252:255], a[190:191], v[174:175], v[252:255]// 00000000E87C: D3F300FC 0FF35DBE
	s_waitcnt vmcnt(45)                                        // 00000000E884: BF8C8F7D
	v_mfma_f32_16x16x32_fp8_fp8 v[224:227], a[192:193], v[144:145], v[224:227]// 00000000E888: D3F300E0 0F8321C0
	buffer_load_dwordx4 a[64:67], v48, s[12:15], 0 offen       // 00000000E890: E05C1000 80834030
	v_mfma_f32_16x16x32_fp8_fp8 v[224:227], a[194:195], v[146:147], v[224:227]// 00000000E898: D3F300E0 0F8325C2
	v_mfma_f32_16x16x32_fp8_fp8 v[228:231], a[192:193], v[176:177], v[228:231]// 00000000E8A0: D3F300E4 0F9361C0
	v_mfma_f32_16x16x32_fp8_fp8 v[228:231], a[194:195], v[178:179], v[228:231]// 00000000E8A8: D3F300E4 0F9365C2
	v_mfma_f32_16x16x32_fp8_fp8 v[232:235], a[196:197], v[144:145], v[232:235]// 00000000E8B0: D3F300E8 0FA321C4
	buffer_load_dwordx4 a[68:71], v49, s[12:15], 0 offen       // 00000000E8B8: E05C1000 80834431
	v_mfma_f32_16x16x32_fp8_fp8 v[232:235], a[198:199], v[146:147], v[232:235]// 00000000E8C0: D3F300E8 0FA325C6
	v_mfma_f32_16x16x32_fp8_fp8 v[236:239], a[196:197], v[176:177], v[236:239]// 00000000E8C8: D3F300EC 0FB361C4
	v_mfma_f32_16x16x32_fp8_fp8 v[236:239], a[198:199], v[178:179], v[236:239]// 00000000E8D0: D3F300EC 0FB365C6
	v_mfma_f32_16x16x32_fp8_fp8 v[240:243], a[200:201], v[144:145], v[240:243]// 00000000E8D8: D3F300F0 0FC321C8
	buffer_load_dwordx4 a[72:75], v50, s[12:15], 0 offen       // 00000000E8E0: E05C1000 80834832
	v_mfma_f32_16x16x32_fp8_fp8 v[240:243], a[202:203], v[146:147], v[240:243]// 00000000E8E8: D3F300F0 0FC325CA
	v_mfma_f32_16x16x32_fp8_fp8 v[244:247], a[200:201], v[176:177], v[244:247]// 00000000E8F0: D3F300F4 0FD361C8
	v_mfma_f32_16x16x32_fp8_fp8 v[244:247], a[202:203], v[178:179], v[244:247]// 00000000E8F8: D3F300F4 0FD365CA
	v_mfma_f32_16x16x32_fp8_fp8 v[248:251], a[204:205], v[144:145], v[248:251]// 00000000E900: D3F300F8 0FE321CC
	buffer_load_dwordx4 a[76:79], v51, s[12:15], 0 offen       // 00000000E908: E05C1000 80834C33
	s_add_u32 s12, s78, s12                                    // 00000000E910: 800C0C4E
	s_addc_u32 s13, 0, s13                                     // 00000000E914: 820D0D80
	v_mfma_f32_16x16x32_fp8_fp8 v[248:251], a[206:207], v[146:147], v[248:251]// 00000000E918: D3F300F8 0FE325CE
	v_mfma_f32_16x16x32_fp8_fp8 v[252:255], a[204:205], v[176:177], v[252:255]// 00000000E920: D3F300FC 0FF361CC
	v_mfma_f32_16x16x32_fp8_fp8 v[252:255], a[206:207], v[178:179], v[252:255]// 00000000E928: D3F300FC 0FF365CE
	s_waitcnt vmcnt(45)                                        // 00000000E930: BF8C8F7D
	v_mfma_f32_16x16x32_fp8_fp8 v[224:227], a[208:209], v[148:149], v[224:227]// 00000000E934: D3F300E0 0F8329D0
	buffer_load_dwordx4 a[80:83], v48, s[12:15], 0 offen       // 00000000E93C: E05C1000 80835030
	v_mfma_f32_16x16x32_fp8_fp8 v[224:227], a[210:211], v[150:151], v[224:227]// 00000000E944: D3F300E0 0F832DD2
	v_mfma_f32_16x16x32_fp8_fp8 v[228:231], a[208:209], v[180:181], v[228:231]// 00000000E94C: D3F300E4 0F9369D0
	v_mfma_f32_16x16x32_fp8_fp8 v[228:231], a[210:211], v[182:183], v[228:231]// 00000000E954: D3F300E4 0F936DD2
	v_mfma_f32_16x16x32_fp8_fp8 v[232:235], a[212:213], v[148:149], v[232:235]// 00000000E95C: D3F300E8 0FA329D4
	buffer_load_dwordx4 a[84:87], v49, s[12:15], 0 offen       // 00000000E964: E05C1000 80835431
	v_mfma_f32_16x16x32_fp8_fp8 v[232:235], a[214:215], v[150:151], v[232:235]// 00000000E96C: D3F300E8 0FA32DD6
	v_mfma_f32_16x16x32_fp8_fp8 v[236:239], a[212:213], v[180:181], v[236:239]// 00000000E974: D3F300EC 0FB369D4
	v_mfma_f32_16x16x32_fp8_fp8 v[236:239], a[214:215], v[182:183], v[236:239]// 00000000E97C: D3F300EC 0FB36DD6
	v_mfma_f32_16x16x32_fp8_fp8 v[240:243], a[216:217], v[148:149], v[240:243]// 00000000E984: D3F300F0 0FC329D8
	buffer_load_dwordx4 a[88:91], v50, s[12:15], 0 offen       // 00000000E98C: E05C1000 80835832
	v_mfma_f32_16x16x32_fp8_fp8 v[240:243], a[218:219], v[150:151], v[240:243]// 00000000E994: D3F300F0 0FC32DDA
	v_mfma_f32_16x16x32_fp8_fp8 v[244:247], a[216:217], v[180:181], v[244:247]// 00000000E99C: D3F300F4 0FD369D8
	v_mfma_f32_16x16x32_fp8_fp8 v[244:247], a[218:219], v[182:183], v[244:247]// 00000000E9A4: D3F300F4 0FD36DDA
	v_mfma_f32_16x16x32_fp8_fp8 v[248:251], a[220:221], v[148:149], v[248:251]// 00000000E9AC: D3F300F8 0FE329DC
	buffer_load_dwordx4 a[92:95], v51, s[12:15], 0 offen       // 00000000E9B4: E05C1000 80835C33
	s_add_u32 s12, s78, s12                                    // 00000000E9BC: 800C0C4E
	s_addc_u32 s13, 0, s13                                     // 00000000E9C0: 820D0D80
	v_mfma_f32_16x16x32_fp8_fp8 v[248:251], a[222:223], v[150:151], v[248:251]// 00000000E9C4: D3F300F8 0FE32DDE
	v_mfma_f32_16x16x32_fp8_fp8 v[252:255], a[220:221], v[180:181], v[252:255]// 00000000E9CC: D3F300FC 0FF369DC
	v_mfma_f32_16x16x32_fp8_fp8 v[252:255], a[222:223], v[182:183], v[252:255]// 00000000E9D4: D3F300FC 0FF36DDE
	s_waitcnt vmcnt(45)                                        // 00000000E9DC: BF8C8F7D
	v_mfma_f32_16x16x32_fp8_fp8 v[224:227], a[224:225], v[152:153], v[224:227]// 00000000E9E0: D3F300E0 0F8331E0
	buffer_load_dwordx4 a[96:99], v48, s[12:15], 0 offen       // 00000000E9E8: E05C1000 80836030
	v_mfma_f32_16x16x32_fp8_fp8 v[224:227], a[226:227], v[154:155], v[224:227]// 00000000E9F0: D3F300E0 0F8335E2
	v_mfma_f32_16x16x32_fp8_fp8 v[228:231], a[224:225], v[184:185], v[228:231]// 00000000E9F8: D3F300E4 0F9371E0
	v_mfma_f32_16x16x32_fp8_fp8 v[228:231], a[226:227], v[186:187], v[228:231]// 00000000EA00: D3F300E4 0F9375E2
	v_mfma_f32_16x16x32_fp8_fp8 v[232:235], a[228:229], v[152:153], v[232:235]// 00000000EA08: D3F300E8 0FA331E4
	buffer_load_dwordx4 a[100:103], v49, s[12:15], 0 offen     // 00000000EA10: E05C1000 80836431
	v_mfma_f32_16x16x32_fp8_fp8 v[232:235], a[230:231], v[154:155], v[232:235]// 00000000EA18: D3F300E8 0FA335E6
	v_mfma_f32_16x16x32_fp8_fp8 v[236:239], a[228:229], v[184:185], v[236:239]// 00000000EA20: D3F300EC 0FB371E4
	v_mfma_f32_16x16x32_fp8_fp8 v[236:239], a[230:231], v[186:187], v[236:239]// 00000000EA28: D3F300EC 0FB375E6
	v_mfma_f32_16x16x32_fp8_fp8 v[240:243], a[232:233], v[152:153], v[240:243]// 00000000EA30: D3F300F0 0FC331E8
	buffer_load_dwordx4 a[104:107], v50, s[12:15], 0 offen     // 00000000EA38: E05C1000 80836832
	v_mfma_f32_16x16x32_fp8_fp8 v[240:243], a[234:235], v[154:155], v[240:243]// 00000000EA40: D3F300F0 0FC335EA
	v_mfma_f32_16x16x32_fp8_fp8 v[244:247], a[232:233], v[184:185], v[244:247]// 00000000EA48: D3F300F4 0FD371E8
	v_mfma_f32_16x16x32_fp8_fp8 v[244:247], a[234:235], v[186:187], v[244:247]// 00000000EA50: D3F300F4 0FD375EA
	v_mfma_f32_16x16x32_fp8_fp8 v[248:251], a[236:237], v[152:153], v[248:251]// 00000000EA58: D3F300F8 0FE331EC
	buffer_load_dwordx4 a[108:111], v51, s[12:15], 0 offen     // 00000000EA60: E05C1000 80836C33
	s_add_u32 s12, s78, s12                                    // 00000000EA68: 800C0C4E
	s_addc_u32 s13, 0, s13                                     // 00000000EA6C: 820D0D80
	v_mfma_f32_16x16x32_fp8_fp8 v[248:251], a[238:239], v[154:155], v[248:251]// 00000000EA70: D3F300F8 0FE335EE
	v_mfma_f32_16x16x32_fp8_fp8 v[252:255], a[236:237], v[184:185], v[252:255]// 00000000EA78: D3F300FC 0FF371EC
	v_mfma_f32_16x16x32_fp8_fp8 v[252:255], a[238:239], v[186:187], v[252:255]// 00000000EA80: D3F300FC 0FF375EE
	s_waitcnt vmcnt(44)                                        // 00000000EA88: BF8C8F7C
	v_mfma_f32_16x16x32_fp8_fp8 v[224:227], a[240:241], v[156:157], v[224:227]// 00000000EA8C: D3F300E0 0F8339F0
	buffer_load_dwordx4 a[112:115], v48, s[12:15], 0 offen     // 00000000EA94: E05C1000 80837030
	v_mfma_f32_16x16x32_fp8_fp8 v[224:227], a[242:243], v[158:159], v[224:227]// 00000000EA9C: D3F300E0 0F833DF2
	v_mfma_f32_16x16x32_fp8_fp8 v[228:231], a[240:241], v[188:189], v[228:231]// 00000000EAA4: D3F300E4 0F9379F0
	buffer_load_dword v12, v5, s[16:19], 0 offen               // 00000000EAAC: E0501000 80040C05
	v_mfma_f32_16x16x32_fp8_fp8 v[228:231], a[242:243], v[190:191], v[228:231]// 00000000EAB4: D3F300E4 0F937DF2
	v_mfma_f32_16x16x32_fp8_fp8 v[232:235], a[244:245], v[156:157], v[232:235]// 00000000EABC: D3F300E8 0FA339F4
	buffer_load_dwordx4 a[116:119], v49, s[12:15], 0 offen     // 00000000EAC4: E05C1000 80837431
	v_mfma_f32_16x16x32_fp8_fp8 v[232:235], a[246:247], v[158:159], v[232:235]// 00000000EACC: D3F300E8 0FA33DF6
	v_mfma_f32_16x16x32_fp8_fp8 v[236:239], a[244:245], v[188:189], v[236:239]// 00000000EAD4: D3F300EC 0FB379F4
	v_mfma_f32_16x16x32_fp8_fp8 v[236:239], a[246:247], v[190:191], v[236:239]// 00000000EADC: D3F300EC 0FB37DF6
	v_mfma_f32_16x16x32_fp8_fp8 v[240:243], a[248:249], v[156:157], v[240:243]// 00000000EAE4: D3F300F0 0FC339F8
	buffer_load_dwordx4 a[120:123], v50, s[12:15], 0 offen     // 00000000EAEC: E05C1000 80837832
	v_mfma_f32_16x16x32_fp8_fp8 v[240:243], a[250:251], v[158:159], v[240:243]// 00000000EAF4: D3F300F0 0FC33DFA
	v_mfma_f32_16x16x32_fp8_fp8 v[244:247], a[248:249], v[188:189], v[244:247]// 00000000EAFC: D3F300F4 0FD379F8
	v_mfma_f32_16x16x32_fp8_fp8 v[244:247], a[250:251], v[190:191], v[244:247]// 00000000EB04: D3F300F4 0FD37DFA
	v_mfma_f32_16x16x32_fp8_fp8 v[248:251], a[252:253], v[156:157], v[248:251]// 00000000EB0C: D3F300F8 0FE339FC
	buffer_load_dwordx4 a[124:127], v51, s[12:15], 0 offen     // 00000000EB14: E05C1000 80837C33
	v_mfma_f32_16x16x32_fp8_fp8 v[248:251], a[254:255], v[158:159], v[248:251]// 00000000EB1C: D3F300F8 0FE33DFE
	v_mfma_f32_16x16x32_fp8_fp8 v[252:255], a[252:253], v[188:189], v[252:255]// 00000000EB24: D3F300FC 0FF379FC
	v_mfma_f32_16x16x32_fp8_fp8 v[252:255], a[254:255], v[190:191], v[252:255]// 00000000EB2C: D3F300FC 0FF37DFE
	s_add_u32 s60, 0x200, s80                                  // 00000000EB34: 803C50FF 00000200
	s_cmp_lt_u32 s60, s81                                      // 00000000EB3C: BF0A513C
	s_cselect_b32 s56, s56, 0                                  // 00000000EB40: 85388038
	s_cselect_b32 s78, s78, 0                                  // 00000000EB44: 854E804E
	s_cselect_b32 s79, s79, 0                                  // 00000000EB48: 854F804F
	s_add_u32 s12, s56, s12                                    // 00000000EB4C: 800C0C38
	s_addc_u32 s13, 0, s13                                     // 00000000EB50: 820D0D80
	s_add_u32 s16, s79, s16                                    // 00000000EB54: 8010104F
	s_addc_u32 s17, 0, s17                                     // 00000000EB58: 82111180
	v_mov_b32_e32 v44, v24                                     // 00000000EB5C: 7E580318
	v_mov_b32_e32 v46, v20                                     // 00000000EB60: 7E5C0314
	v_mov_b32_e32 v45, v44                                     // 00000000EB64: 7E5A032C
	v_mov_b32_e32 v47, v46                                     // 00000000EB68: 7E5E032E
	v_pk_mul_f32 v[224:225], v[44:45], v[224:225]              // 00000000EB6C: D3B140E0 1803C12C
	v_pk_mul_f32 v[226:227], v[44:45], v[226:227]              // 00000000EB74: D3B140E2 1803C52C
	v_mul_f32_dpp v224, v13, v224 row_newbcast:0 row_mask:0xf bank_mask:0xf// 00000000EB7C: 0BC1C0FA FF01500D
	v_mul_f32_dpp v225, v13, v225 row_newbcast:1 row_mask:0xf bank_mask:0xf// 00000000EB84: 0BC3C2FA FF01510D
	v_mul_f32_dpp v226, v13, v226 row_newbcast:2 row_mask:0xf bank_mask:0xf// 00000000EB8C: 0BC5C4FA FF01520D
	v_mul_f32_dpp v227, v13, v227 row_newbcast:3 row_mask:0xf bank_mask:0xf// 00000000EB94: 0BC7C6FA FF01530D
	v_pk_mul_f32 v[224:225], v[46:47], v[224:225]              // 00000000EB9C: D3B140E0 1803C12E
	v_pk_mul_f32 v[226:227], v[46:47], v[226:227]              // 00000000EBA4: D3B140E2 1803C52E
	v_pk_mul_f32 v[232:233], v[44:45], v[232:233]              // 00000000EBAC: D3B140E8 1803D12C
	v_pk_mul_f32 v[234:235], v[44:45], v[234:235]              // 00000000EBB4: D3B140EA 1803D52C
	v_mul_f32_dpp v232, v13, v232 row_newbcast:4 row_mask:0xf bank_mask:0xf// 00000000EBBC: 0BD1D0FA FF01540D
	v_mul_f32_dpp v233, v13, v233 row_newbcast:5 row_mask:0xf bank_mask:0xf// 00000000EBC4: 0BD3D2FA FF01550D
	v_mul_f32_dpp v234, v13, v234 row_newbcast:6 row_mask:0xf bank_mask:0xf// 00000000EBCC: 0BD5D4FA FF01560D
	v_mul_f32_dpp v235, v13, v235 row_newbcast:7 row_mask:0xf bank_mask:0xf// 00000000EBD4: 0BD7D6FA FF01570D
	v_pk_mul_f32 v[232:233], v[46:47], v[232:233]              // 00000000EBDC: D3B140E8 1803D12E
	v_pk_mul_f32 v[234:235], v[46:47], v[234:235]              // 00000000EBE4: D3B140EA 1803D52E
	v_pk_mul_f32 v[240:241], v[44:45], v[240:241]              // 00000000EBEC: D3B140F0 1803E12C
	v_pk_mul_f32 v[242:243], v[44:45], v[242:243]              // 00000000EBF4: D3B140F2 1803E52C
	v_mul_f32_dpp v240, v13, v240 row_newbcast:8 row_mask:0xf bank_mask:0xf// 00000000EBFC: 0BE1E0FA FF01580D
	v_mul_f32_dpp v241, v13, v241 row_newbcast:9 row_mask:0xf bank_mask:0xf// 00000000EC04: 0BE3E2FA FF01590D
	v_mul_f32_dpp v242, v13, v242 row_newbcast:10 row_mask:0xf bank_mask:0xf// 00000000EC0C: 0BE5E4FA FF015A0D
	v_mul_f32_dpp v243, v13, v243 row_newbcast:11 row_mask:0xf bank_mask:0xf// 00000000EC14: 0BE7E6FA FF015B0D
	v_pk_mul_f32 v[240:241], v[46:47], v[240:241]              // 00000000EC1C: D3B140F0 1803E12E
	v_pk_mul_f32 v[242:243], v[46:47], v[242:243]              // 00000000EC24: D3B140F2 1803E52E
	v_pk_mul_f32 v[248:249], v[44:45], v[248:249]              // 00000000EC2C: D3B140F8 1803F12C
	v_pk_mul_f32 v[250:251], v[44:45], v[250:251]              // 00000000EC34: D3B140FA 1803F52C
	v_mul_f32_dpp v248, v13, v248 row_newbcast:12 row_mask:0xf bank_mask:0xf// 00000000EC3C: 0BF1F0FA FF015C0D
	v_mul_f32_dpp v249, v13, v249 row_newbcast:13 row_mask:0xf bank_mask:0xf// 00000000EC44: 0BF3F2FA FF015D0D
	v_mul_f32_dpp v250, v13, v250 row_newbcast:14 row_mask:0xf bank_mask:0xf// 00000000EC4C: 0BF5F4FA FF015E0D
	v_mul_f32_dpp v251, v13, v251 row_newbcast:15 row_mask:0xf bank_mask:0xf// 00000000EC54: 0BF7F6FA FF015F0D
	v_pk_mul_f32 v[248:249], v[46:47], v[248:249]              // 00000000EC5C: D3B140F8 1803F12E
	v_pk_mul_f32 v[250:251], v[46:47], v[250:251]              // 00000000EC64: D3B140FA 1803F52E
	v_mov_b32_e32 v44, v25                                     // 00000000EC6C: 7E580319
	v_mov_b32_e32 v46, v21                                     // 00000000EC70: 7E5C0315
	v_mov_b32_e32 v45, v44                                     // 00000000EC74: 7E5A032C
	v_mov_b32_e32 v47, v46                                     // 00000000EC78: 7E5E032E
	v_pk_mul_f32 v[228:229], v[44:45], v[228:229]              // 00000000EC7C: D3B140E4 1803C92C
	v_pk_mul_f32 v[230:231], v[44:45], v[230:231]              // 00000000EC84: D3B140E6 1803CD2C
	v_mul_f32_dpp v228, v13, v228 row_newbcast:0 row_mask:0xf bank_mask:0xf// 00000000EC8C: 0BC9C8FA FF01500D
	v_mul_f32_dpp v229, v13, v229 row_newbcast:1 row_mask:0xf bank_mask:0xf// 00000000EC94: 0BCBCAFA FF01510D
	v_mul_f32_dpp v230, v13, v230 row_newbcast:2 row_mask:0xf bank_mask:0xf// 00000000EC9C: 0BCDCCFA FF01520D
	v_mul_f32_dpp v231, v13, v231 row_newbcast:3 row_mask:0xf bank_mask:0xf// 00000000ECA4: 0BCFCEFA FF01530D
	v_pk_mul_f32 v[228:229], v[46:47], v[228:229]              // 00000000ECAC: D3B140E4 1803C92E
	v_pk_mul_f32 v[230:231], v[46:47], v[230:231]              // 00000000ECB4: D3B140E6 1803CD2E
	v_pk_mul_f32 v[236:237], v[44:45], v[236:237]              // 00000000ECBC: D3B140EC 1803D92C
	v_pk_mul_f32 v[238:239], v[44:45], v[238:239]              // 00000000ECC4: D3B140EE 1803DD2C
	v_mul_f32_dpp v236, v13, v236 row_newbcast:4 row_mask:0xf bank_mask:0xf// 00000000ECCC: 0BD9D8FA FF01540D
	v_mul_f32_dpp v237, v13, v237 row_newbcast:5 row_mask:0xf bank_mask:0xf// 00000000ECD4: 0BDBDAFA FF01550D
	v_mul_f32_dpp v238, v13, v238 row_newbcast:6 row_mask:0xf bank_mask:0xf// 00000000ECDC: 0BDDDCFA FF01560D
	v_mul_f32_dpp v239, v13, v239 row_newbcast:7 row_mask:0xf bank_mask:0xf// 00000000ECE4: 0BDFDEFA FF01570D
	v_pk_mul_f32 v[236:237], v[46:47], v[236:237]              // 00000000ECEC: D3B140EC 1803D92E
	v_pk_mul_f32 v[238:239], v[46:47], v[238:239]              // 00000000ECF4: D3B140EE 1803DD2E
	v_pk_mul_f32 v[244:245], v[44:45], v[244:245]              // 00000000ECFC: D3B140F4 1803E92C
	v_pk_mul_f32 v[246:247], v[44:45], v[246:247]              // 00000000ED04: D3B140F6 1803ED2C
	v_mul_f32_dpp v244, v13, v244 row_newbcast:8 row_mask:0xf bank_mask:0xf// 00000000ED0C: 0BE9E8FA FF01580D
	v_mul_f32_dpp v245, v13, v245 row_newbcast:9 row_mask:0xf bank_mask:0xf// 00000000ED14: 0BEBEAFA FF01590D
	v_mul_f32_dpp v246, v13, v246 row_newbcast:10 row_mask:0xf bank_mask:0xf// 00000000ED1C: 0BEDECFA FF015A0D
	v_mul_f32_dpp v247, v13, v247 row_newbcast:11 row_mask:0xf bank_mask:0xf// 00000000ED24: 0BEFEEFA FF015B0D
	v_pk_mul_f32 v[244:245], v[46:47], v[244:245]              // 00000000ED2C: D3B140F4 1803E92E
	v_pk_mul_f32 v[246:247], v[46:47], v[246:247]              // 00000000ED34: D3B140F6 1803ED2E
	v_pk_mul_f32 v[252:253], v[44:45], v[252:253]              // 00000000ED3C: D3B140FC 1803F92C
	v_pk_mul_f32 v[254:255], v[44:45], v[254:255]              // 00000000ED44: D3B140FE 1803FD2C
	v_mul_f32_dpp v252, v13, v252 row_newbcast:12 row_mask:0xf bank_mask:0xf// 00000000ED4C: 0BF9F8FA FF015C0D
	v_mul_f32_dpp v253, v13, v253 row_newbcast:13 row_mask:0xf bank_mask:0xf// 00000000ED54: 0BFBFAFA FF015D0D
	v_mul_f32_dpp v254, v13, v254 row_newbcast:14 row_mask:0xf bank_mask:0xf// 00000000ED5C: 0BFDFCFA FF015E0D
	v_mul_f32_dpp v255, v13, v255 row_newbcast:15 row_mask:0xf bank_mask:0xf// 00000000ED64: 0BFFFEFA FF015F0D
	v_pk_mul_f32 v[252:253], v[46:47], v[252:253]              // 00000000ED6C: D3B140FC 1803F92E
	v_pk_mul_f32 v[254:255], v[46:47], v[254:255]              // 00000000ED74: D3B140FE 1803FD2E
	v_cmp_u_f32_e64 s[48:49], v224, v224                       // 00000000ED7C: D0480030 0003C1E0
	v_add3_u32 v52, v224, v55, 1                               // 00000000ED84: D1FF0034 02066FE0
	v_cndmask_b32_e64 v44, v52, v54, s[48:49]                  // 00000000ED8C: D100002C 00C26D34
	v_cmp_u_f32_e64 s[48:49], v225, v225                       // 00000000ED94: D0480030 0003C3E1
	v_add3_u32 v52, v225, v55, 1                               // 00000000ED9C: D1FF0034 02066FE1
	v_cndmask_b32_e64 v45, v52, v54, s[48:49]                  // 00000000EDA4: D100002D 00C26D34
	v_perm_b32 v224, v45, v44, s52                             // 00000000EDAC: D1ED00E0 00D2592D
	v_cmp_u_f32_e64 s[48:49], v226, v226                       // 00000000EDB4: D0480030 0003C5E2
	v_add3_u32 v52, v226, v55, 1                               // 00000000EDBC: D1FF0034 02066FE2
	v_cndmask_b32_e64 v44, v52, v54, s[48:49]                  // 00000000EDC4: D100002C 00C26D34
	v_cmp_u_f32_e64 s[48:49], v227, v227                       // 00000000EDCC: D0480030 0003C7E3
	v_add3_u32 v52, v227, v55, 1                               // 00000000EDD4: D1FF0034 02066FE3
	v_cndmask_b32_e64 v45, v52, v54, s[48:49]                  // 00000000EDDC: D100002D 00C26D34
	v_perm_b32 v225, v45, v44, s52                             // 00000000EDE4: D1ED00E1 00D2592D
	v_cmp_u_f32_e64 s[48:49], v228, v228                       // 00000000EDEC: D0480030 0003C9E4
	v_add3_u32 v52, v228, v55, 1                               // 00000000EDF4: D1FF0034 02066FE4
	v_cndmask_b32_e64 v44, v52, v54, s[48:49]                  // 00000000EDFC: D100002C 00C26D34
	v_cmp_u_f32_e64 s[48:49], v229, v229                       // 00000000EE04: D0480030 0003CBE5
	v_add3_u32 v52, v229, v55, 1                               // 00000000EE0C: D1FF0034 02066FE5
	v_cndmask_b32_e64 v45, v52, v54, s[48:49]                  // 00000000EE14: D100002D 00C26D34
	v_perm_b32 v226, v45, v44, s52                             // 00000000EE1C: D1ED00E2 00D2592D
	v_cmp_u_f32_e64 s[48:49], v230, v230                       // 00000000EE24: D0480030 0003CDE6
	v_add3_u32 v52, v230, v55, 1                               // 00000000EE2C: D1FF0034 02066FE6
	v_cndmask_b32_e64 v44, v52, v54, s[48:49]                  // 00000000EE34: D100002C 00C26D34
	v_cmp_u_f32_e64 s[48:49], v231, v231                       // 00000000EE3C: D0480030 0003CFE7
	v_add3_u32 v52, v231, v55, 1                               // 00000000EE44: D1FF0034 02066FE7
	v_cndmask_b32_e64 v45, v52, v54, s[48:49]                  // 00000000EE4C: D100002D 00C26D34
	v_perm_b32 v227, v45, v44, s52                             // 00000000EE54: D1ED00E3 00D2592D
	v_cmp_u_f32_e64 s[48:49], v232, v232                       // 00000000EE5C: D0480030 0003D1E8
	v_add3_u32 v52, v232, v55, 1                               // 00000000EE64: D1FF0034 02066FE8
	v_cndmask_b32_e64 v44, v52, v54, s[48:49]                  // 00000000EE6C: D100002C 00C26D34
	v_cmp_u_f32_e64 s[48:49], v233, v233                       // 00000000EE74: D0480030 0003D3E9
	v_add3_u32 v52, v233, v55, 1                               // 00000000EE7C: D1FF0034 02066FE9
	v_cndmask_b32_e64 v45, v52, v54, s[48:49]                  // 00000000EE84: D100002D 00C26D34
	v_perm_b32 v228, v45, v44, s52                             // 00000000EE8C: D1ED00E4 00D2592D
	v_cmp_u_f32_e64 s[48:49], v234, v234                       // 00000000EE94: D0480030 0003D5EA
	v_add3_u32 v52, v234, v55, 1                               // 00000000EE9C: D1FF0034 02066FEA
	v_cndmask_b32_e64 v44, v52, v54, s[48:49]                  // 00000000EEA4: D100002C 00C26D34
	v_cmp_u_f32_e64 s[48:49], v235, v235                       // 00000000EEAC: D0480030 0003D7EB
	v_add3_u32 v52, v235, v55, 1                               // 00000000EEB4: D1FF0034 02066FEB
	v_cndmask_b32_e64 v45, v52, v54, s[48:49]                  // 00000000EEBC: D100002D 00C26D34
	v_perm_b32 v229, v45, v44, s52                             // 00000000EEC4: D1ED00E5 00D2592D
	v_cmp_u_f32_e64 s[48:49], v236, v236                       // 00000000EECC: D0480030 0003D9EC
	v_add3_u32 v52, v236, v55, 1                               // 00000000EED4: D1FF0034 02066FEC
	v_cndmask_b32_e64 v44, v52, v54, s[48:49]                  // 00000000EEDC: D100002C 00C26D34
	v_cmp_u_f32_e64 s[48:49], v237, v237                       // 00000000EEE4: D0480030 0003DBED
	v_add3_u32 v52, v237, v55, 1                               // 00000000EEEC: D1FF0034 02066FED
	v_cndmask_b32_e64 v45, v52, v54, s[48:49]                  // 00000000EEF4: D100002D 00C26D34
	v_perm_b32 v230, v45, v44, s52                             // 00000000EEFC: D1ED00E6 00D2592D
	v_cmp_u_f32_e64 s[48:49], v238, v238                       // 00000000EF04: D0480030 0003DDEE
	v_add3_u32 v52, v238, v55, 1                               // 00000000EF0C: D1FF0034 02066FEE
	v_cndmask_b32_e64 v44, v52, v54, s[48:49]                  // 00000000EF14: D100002C 00C26D34
	v_cmp_u_f32_e64 s[48:49], v239, v239                       // 00000000EF1C: D0480030 0003DFEF
	v_add3_u32 v52, v239, v55, 1                               // 00000000EF24: D1FF0034 02066FEF
	v_cndmask_b32_e64 v45, v52, v54, s[48:49]                  // 00000000EF2C: D100002D 00C26D34
	v_perm_b32 v231, v45, v44, s52                             // 00000000EF34: D1ED00E7 00D2592D
	v_cmp_u_f32_e64 s[48:49], v240, v240                       // 00000000EF3C: D0480030 0003E1F0
	v_add3_u32 v52, v240, v55, 1                               // 00000000EF44: D1FF0034 02066FF0
	v_cndmask_b32_e64 v44, v52, v54, s[48:49]                  // 00000000EF4C: D100002C 00C26D34
	v_cmp_u_f32_e64 s[48:49], v241, v241                       // 00000000EF54: D0480030 0003E3F1
	v_add3_u32 v52, v241, v55, 1                               // 00000000EF5C: D1FF0034 02066FF1
	v_cndmask_b32_e64 v45, v52, v54, s[48:49]                  // 00000000EF64: D100002D 00C26D34
	v_perm_b32 v232, v45, v44, s52                             // 00000000EF6C: D1ED00E8 00D2592D
	v_cmp_u_f32_e64 s[48:49], v242, v242                       // 00000000EF74: D0480030 0003E5F2
	v_add3_u32 v52, v242, v55, 1                               // 00000000EF7C: D1FF0034 02066FF2
	v_cndmask_b32_e64 v44, v52, v54, s[48:49]                  // 00000000EF84: D100002C 00C26D34
	v_cmp_u_f32_e64 s[48:49], v243, v243                       // 00000000EF8C: D0480030 0003E7F3
	v_add3_u32 v52, v243, v55, 1                               // 00000000EF94: D1FF0034 02066FF3
	v_cndmask_b32_e64 v45, v52, v54, s[48:49]                  // 00000000EF9C: D100002D 00C26D34
	v_perm_b32 v233, v45, v44, s52                             // 00000000EFA4: D1ED00E9 00D2592D
	v_cmp_u_f32_e64 s[48:49], v244, v244                       // 00000000EFAC: D0480030 0003E9F4
	v_add3_u32 v52, v244, v55, 1                               // 00000000EFB4: D1FF0034 02066FF4
	v_cndmask_b32_e64 v44, v52, v54, s[48:49]                  // 00000000EFBC: D100002C 00C26D34
	v_cmp_u_f32_e64 s[48:49], v245, v245                       // 00000000EFC4: D0480030 0003EBF5
	v_add3_u32 v52, v245, v55, 1                               // 00000000EFCC: D1FF0034 02066FF5
	v_cndmask_b32_e64 v45, v52, v54, s[48:49]                  // 00000000EFD4: D100002D 00C26D34
	v_perm_b32 v234, v45, v44, s52                             // 00000000EFDC: D1ED00EA 00D2592D
	v_cmp_u_f32_e64 s[48:49], v246, v246                       // 00000000EFE4: D0480030 0003EDF6
	v_add3_u32 v52, v246, v55, 1                               // 00000000EFEC: D1FF0034 02066FF6
	v_cndmask_b32_e64 v44, v52, v54, s[48:49]                  // 00000000EFF4: D100002C 00C26D34
	v_cmp_u_f32_e64 s[48:49], v247, v247                       // 00000000EFFC: D0480030 0003EFF7
	v_add3_u32 v52, v247, v55, 1                               // 00000000F004: D1FF0034 02066FF7
	v_cndmask_b32_e64 v45, v52, v54, s[48:49]                  // 00000000F00C: D100002D 00C26D34
	v_perm_b32 v235, v45, v44, s52                             // 00000000F014: D1ED00EB 00D2592D
	v_cmp_u_f32_e64 s[48:49], v248, v248                       // 00000000F01C: D0480030 0003F1F8
	v_add3_u32 v52, v248, v55, 1                               // 00000000F024: D1FF0034 02066FF8
	v_cndmask_b32_e64 v44, v52, v54, s[48:49]                  // 00000000F02C: D100002C 00C26D34
	v_cmp_u_f32_e64 s[48:49], v249, v249                       // 00000000F034: D0480030 0003F3F9
	v_add3_u32 v52, v249, v55, 1                               // 00000000F03C: D1FF0034 02066FF9
	v_cndmask_b32_e64 v45, v52, v54, s[48:49]                  // 00000000F044: D100002D 00C26D34
	v_perm_b32 v236, v45, v44, s52                             // 00000000F04C: D1ED00EC 00D2592D
	v_cmp_u_f32_e64 s[48:49], v250, v250                       // 00000000F054: D0480030 0003F5FA
	v_add3_u32 v52, v250, v55, 1                               // 00000000F05C: D1FF0034 02066FFA
	v_cndmask_b32_e64 v44, v52, v54, s[48:49]                  // 00000000F064: D100002C 00C26D34
	v_cmp_u_f32_e64 s[48:49], v251, v251                       // 00000000F06C: D0480030 0003F7FB
	v_add3_u32 v52, v251, v55, 1                               // 00000000F074: D1FF0034 02066FFB
	v_cndmask_b32_e64 v45, v52, v54, s[48:49]                  // 00000000F07C: D100002D 00C26D34
	v_perm_b32 v237, v45, v44, s52                             // 00000000F084: D1ED00ED 00D2592D
	v_cmp_u_f32_e64 s[48:49], v252, v252                       // 00000000F08C: D0480030 0003F9FC
	v_add3_u32 v52, v252, v55, 1                               // 00000000F094: D1FF0034 02066FFC
	v_cndmask_b32_e64 v44, v52, v54, s[48:49]                  // 00000000F09C: D100002C 00C26D34
	v_cmp_u_f32_e64 s[48:49], v253, v253                       // 00000000F0A4: D0480030 0003FBFD
	v_add3_u32 v52, v253, v55, 1                               // 00000000F0AC: D1FF0034 02066FFD
	v_cndmask_b32_e64 v45, v52, v54, s[48:49]                  // 00000000F0B4: D100002D 00C26D34
	v_perm_b32 v238, v45, v44, s52                             // 00000000F0BC: D1ED00EE 00D2592D
	v_cmp_u_f32_e64 s[48:49], v254, v254                       // 00000000F0C4: D0480030 0003FDFE
	v_add3_u32 v52, v254, v55, 1                               // 00000000F0CC: D1FF0034 02066FFE
	v_cndmask_b32_e64 v44, v52, v54, s[48:49]                  // 00000000F0D4: D100002C 00C26D34
	v_cmp_u_f32_e64 s[48:49], v255, v255                       // 00000000F0DC: D0480030 0003FFFF
	v_add3_u32 v52, v255, v55, 1                               // 00000000F0E4: D1FF0034 02066FFF
	v_cndmask_b32_e64 v45, v52, v54, s[48:49]                  // 00000000F0EC: D100002D 00C26D34
	v_perm_b32 v239, v45, v44, s52                             // 00000000F0F4: D1ED00EF 00D2592D
	ds_write_b64 v3, v[224:225] offset:2048                    // 00000000F0FC: D89A0800 0000E003
	ds_write_b64 v3, v[226:227] offset:10752                   // 00000000F104: D89A2A00 0000E203
	ds_write_b64 v3, v[228:229] offset:4224                    // 00000000F10C: D89A1080 0000E403
	ds_write_b64 v3, v[230:231] offset:12928                   // 00000000F114: D89A3280 0000E603
	ds_write_b64 v3, v[232:233] offset:6400                    // 00000000F11C: D89A1900 0000E803
	ds_write_b64 v3, v[234:235] offset:15104                   // 00000000F124: D89A3B00 0000EA03
	ds_write_b64 v3, v[236:237] offset:8576                    // 00000000F12C: D89A2180 0000EC03
	ds_write_b64 v3, v[238:239] offset:17280                   // 00000000F134: D89A4380 0000EE03
	s_waitcnt lgkmcnt(0)                                       // 00000000F13C: BF8CC07F
	s_barrier                                                  // 00000000F140: BF8A0000
	ds_read_b32 v64, v4 offset:2048                            // 00000000F144: D86C0800 40000004
	ds_read_b32 v65, v4 offset:6400                            // 00000000F14C: D86C1900 41000004
	ds_read_b32 v66, v4 offset:2080                            // 00000000F154: D86C0820 42000004
	ds_read_b32 v67, v4 offset:6432                            // 00000000F15C: D86C1920 43000004
	ds_read_b32 v68, v4 offset:2112                            // 00000000F164: D86C0840 44000004
	ds_read_b32 v69, v4 offset:6464                            // 00000000F16C: D86C1940 45000004
	ds_read_b32 v70, v4 offset:2144                            // 00000000F174: D86C0860 46000004
	ds_read_b32 v71, v4 offset:6496                            // 00000000F17C: D86C1960 47000004
	ds_read_b32 v72, v4 offset:10752                           // 00000000F184: D86C2A00 48000004
	ds_read_b32 v73, v4 offset:15104                           // 00000000F18C: D86C3B00 49000004
	ds_read_b32 v74, v4 offset:10784                           // 00000000F194: D86C2A20 4A000004
	ds_read_b32 v75, v4 offset:15136                           // 00000000F19C: D86C3B20 4B000004
	ds_read_b32 v76, v4 offset:10816                           // 00000000F1A4: D86C2A40 4C000004
	ds_read_b32 v77, v4 offset:15168                           // 00000000F1AC: D86C3B40 4D000004
	ds_read_b32 v78, v4 offset:10848                           // 00000000F1B4: D86C2A60 4E000004
	ds_read_b32 v79, v4 offset:15200                           // 00000000F1BC: D86C3B60 4F000004
	s_waitcnt lgkmcnt(0)                                       // 00000000F1C4: BF8CC07F
	s_mov_b64 exec, s[20:21]                                   // 00000000F1C8: BEFE0114
	global_atomic_pk_add_bf16 v80, v64, s[8:9]                 // 00000000F1CC: DD488000 00084050
	s_mov_b64 exec, s[36:37]                                   // 00000000F1D4: BEFE0124
	s_mov_b64 exec, s[20:21]                                   // 00000000F1D8: BEFE0114
	global_atomic_pk_add_bf16 v80, v65, s[8:9] offset:256      // 00000000F1DC: DD488100 00084150
	s_mov_b64 exec, s[36:37]                                   // 00000000F1E4: BEFE0124
	s_mov_b64 exec, s[22:23]                                   // 00000000F1E8: BEFE0116
	global_atomic_pk_add_bf16 v82, v66, s[8:9]                 // 00000000F1EC: DD488000 00084252
	s_mov_b64 exec, s[36:37]                                   // 00000000F1F4: BEFE0124
	s_mov_b64 exec, s[22:23]                                   // 00000000F1F8: BEFE0116
	global_atomic_pk_add_bf16 v82, v67, s[8:9] offset:256      // 00000000F1FC: DD488100 00084352
	s_mov_b64 exec, s[36:37]                                   // 00000000F204: BEFE0124
	s_mov_b64 exec, s[24:25]                                   // 00000000F208: BEFE0118
	global_atomic_pk_add_bf16 v84, v68, s[8:9]                 // 00000000F20C: DD488000 00084454
	s_mov_b64 exec, s[36:37]                                   // 00000000F214: BEFE0124
	s_mov_b64 exec, s[24:25]                                   // 00000000F218: BEFE0118
	global_atomic_pk_add_bf16 v84, v69, s[8:9] offset:256      // 00000000F21C: DD488100 00084554
	s_mov_b64 exec, s[36:37]                                   // 00000000F224: BEFE0124
	s_mov_b64 exec, s[26:27]                                   // 00000000F228: BEFE011A
	global_atomic_pk_add_bf16 v86, v70, s[8:9]                 // 00000000F22C: DD488000 00084656
	s_mov_b64 exec, s[36:37]                                   // 00000000F234: BEFE0124
	s_mov_b64 exec, s[26:27]                                   // 00000000F238: BEFE011A
	global_atomic_pk_add_bf16 v86, v71, s[8:9] offset:256      // 00000000F23C: DD488100 00084756
	s_mov_b64 exec, s[36:37]                                   // 00000000F244: BEFE0124
	s_mov_b64 exec, s[28:29]                                   // 00000000F248: BEFE011C
	global_atomic_pk_add_bf16 v88, v72, s[8:9]                 // 00000000F24C: DD488000 00084858
	s_mov_b64 exec, s[36:37]                                   // 00000000F254: BEFE0124
	s_mov_b64 exec, s[28:29]                                   // 00000000F258: BEFE011C
	global_atomic_pk_add_bf16 v88, v73, s[8:9] offset:256      // 00000000F25C: DD488100 00084958
	s_mov_b64 exec, s[36:37]                                   // 00000000F264: BEFE0124
	s_mov_b64 exec, s[30:31]                                   // 00000000F268: BEFE011E
	global_atomic_pk_add_bf16 v90, v74, s[8:9]                 // 00000000F26C: DD488000 00084A5A
	s_mov_b64 exec, s[36:37]                                   // 00000000F274: BEFE0124
	s_mov_b64 exec, s[30:31]                                   // 00000000F278: BEFE011E
	global_atomic_pk_add_bf16 v90, v75, s[8:9] offset:256      // 00000000F27C: DD488100 00084B5A
	s_mov_b64 exec, s[36:37]                                   // 00000000F284: BEFE0124
	s_mov_b64 exec, s[32:33]                                   // 00000000F288: BEFE0120
	global_atomic_pk_add_bf16 v92, v76, s[8:9]                 // 00000000F28C: DD488000 00084C5C
	s_mov_b64 exec, s[36:37]                                   // 00000000F294: BEFE0124
	s_mov_b64 exec, s[32:33]                                   // 00000000F298: BEFE0120
	global_atomic_pk_add_bf16 v92, v77, s[8:9] offset:256      // 00000000F29C: DD488100 00084D5C
	s_mov_b64 exec, s[36:37]                                   // 00000000F2A4: BEFE0124
	s_mov_b64 exec, s[34:35]                                   // 00000000F2A8: BEFE0122
	global_atomic_pk_add_bf16 v94, v78, s[8:9]                 // 00000000F2AC: DD488000 00084E5E
	s_mov_b64 exec, s[36:37]                                   // 00000000F2B4: BEFE0124
	s_mov_b64 exec, s[34:35]                                   // 00000000F2B8: BEFE0122
	global_atomic_pk_add_bf16 v94, v79, s[8:9] offset:256      // 00000000F2BC: DD488100 00084F5E
	s_mov_b64 exec, s[36:37]                                   // 00000000F2C4: BEFE0124
	s_add_u32 s8, s59, s8                                      // 00000000F2C8: 8008083B
	s_addc_u32 s9, 0, s9                                       // 00000000F2CC: 82090980
	s_addk_i32 s80, 0x100                                      // 00000000F2D0: B7500100
	s_cmp_lt_i32 s80, s81                                      // 00000000F2D4: BF045150
	s_cbranch_scc0 label_1B05                                  // 00000000F2D8: BF84E90E
	s_branch label_2B71                                        // 00000000F2DC: BF82F979

000000000000f2e0 <label_31F8>:
	s_waitcnt vmcnt(0) expcnt(0) lgkmcnt(0)                    // 00000000F2E0: BF8C0000
	s_endpgm                                                   // 00000000F2E4: BF810000
